;; amdgpu-corpus repo=ROCm/rocFFT kind=compiled arch=gfx1100 opt=O3
	.text
	.amdgcn_target "amdgcn-amd-amdhsa--gfx1100"
	.amdhsa_code_object_version 6
	.protected	fft_rtc_fwd_len1690_factors_13_10_13_wgs_169_tpt_169_dp_ip_CI_unitstride_sbrr_C2R_dirReg ; -- Begin function fft_rtc_fwd_len1690_factors_13_10_13_wgs_169_tpt_169_dp_ip_CI_unitstride_sbrr_C2R_dirReg
	.globl	fft_rtc_fwd_len1690_factors_13_10_13_wgs_169_tpt_169_dp_ip_CI_unitstride_sbrr_C2R_dirReg
	.p2align	8
	.type	fft_rtc_fwd_len1690_factors_13_10_13_wgs_169_tpt_169_dp_ip_CI_unitstride_sbrr_C2R_dirReg,@function
fft_rtc_fwd_len1690_factors_13_10_13_wgs_169_tpt_169_dp_ip_CI_unitstride_sbrr_C2R_dirReg: ; @fft_rtc_fwd_len1690_factors_13_10_13_wgs_169_tpt_169_dp_ip_CI_unitstride_sbrr_C2R_dirReg
; %bb.0:
	s_clause 0x2
	s_load_b128 s[4:7], s[0:1], 0x0
	s_load_b64 s[8:9], s[0:1], 0x50
	s_load_b64 s[10:11], s[0:1], 0x18
	v_mul_u32_u24_e32 v1, 0x184, v0
	v_mov_b32_e32 v3, 0
	v_mov_b32_e32 v4, 0
	s_delay_alu instid0(VALU_DEP_3) | instskip(SKIP_1) | instid1(VALU_DEP_1)
	v_lshrrev_b32_e32 v2, 16, v1
	v_mov_b32_e32 v1, 0
	v_dual_mov_b32 v6, v1 :: v_dual_add_nc_u32 v5, s15, v2
	s_waitcnt lgkmcnt(0)
	v_cmp_lt_u64_e64 s2, s[6:7], 2
	s_delay_alu instid0(VALU_DEP_1)
	s_and_b32 vcc_lo, exec_lo, s2
	s_cbranch_vccnz .LBB0_8
; %bb.1:
	s_load_b64 s[2:3], s[0:1], 0x10
	v_mov_b32_e32 v3, 0
	s_add_u32 s12, s10, 8
	v_mov_b32_e32 v4, 0
	s_addc_u32 s13, s11, 0
	s_mov_b64 s[16:17], 1
	s_waitcnt lgkmcnt(0)
	s_add_u32 s14, s2, 8
	s_addc_u32 s15, s3, 0
.LBB0_2:                                ; =>This Inner Loop Header: Depth=1
	s_load_b64 s[18:19], s[14:15], 0x0
                                        ; implicit-def: $vgpr7_vgpr8
	s_mov_b32 s2, exec_lo
	s_waitcnt lgkmcnt(0)
	v_or_b32_e32 v2, s19, v6
	s_delay_alu instid0(VALU_DEP_1)
	v_cmpx_ne_u64_e32 0, v[1:2]
	s_xor_b32 s3, exec_lo, s2
	s_cbranch_execz .LBB0_4
; %bb.3:                                ;   in Loop: Header=BB0_2 Depth=1
	v_cvt_f32_u32_e32 v2, s18
	v_cvt_f32_u32_e32 v7, s19
	s_sub_u32 s2, 0, s18
	s_subb_u32 s20, 0, s19
	s_delay_alu instid0(VALU_DEP_1) | instskip(NEXT) | instid1(VALU_DEP_1)
	v_fmac_f32_e32 v2, 0x4f800000, v7
	v_rcp_f32_e32 v2, v2
	s_waitcnt_depctr 0xfff
	v_mul_f32_e32 v2, 0x5f7ffffc, v2
	s_delay_alu instid0(VALU_DEP_1) | instskip(NEXT) | instid1(VALU_DEP_1)
	v_mul_f32_e32 v7, 0x2f800000, v2
	v_trunc_f32_e32 v7, v7
	s_delay_alu instid0(VALU_DEP_1) | instskip(SKIP_1) | instid1(VALU_DEP_2)
	v_fmac_f32_e32 v2, 0xcf800000, v7
	v_cvt_u32_f32_e32 v7, v7
	v_cvt_u32_f32_e32 v2, v2
	s_delay_alu instid0(VALU_DEP_2) | instskip(NEXT) | instid1(VALU_DEP_2)
	v_mul_lo_u32 v8, s2, v7
	v_mul_hi_u32 v9, s2, v2
	v_mul_lo_u32 v10, s20, v2
	s_delay_alu instid0(VALU_DEP_2) | instskip(SKIP_1) | instid1(VALU_DEP_2)
	v_add_nc_u32_e32 v8, v9, v8
	v_mul_lo_u32 v9, s2, v2
	v_add_nc_u32_e32 v8, v8, v10
	s_delay_alu instid0(VALU_DEP_2) | instskip(NEXT) | instid1(VALU_DEP_2)
	v_mul_hi_u32 v10, v2, v9
	v_mul_lo_u32 v11, v2, v8
	v_mul_hi_u32 v12, v2, v8
	v_mul_hi_u32 v13, v7, v9
	v_mul_lo_u32 v9, v7, v9
	v_mul_hi_u32 v14, v7, v8
	v_mul_lo_u32 v8, v7, v8
	v_add_co_u32 v10, vcc_lo, v10, v11
	v_add_co_ci_u32_e32 v11, vcc_lo, 0, v12, vcc_lo
	s_delay_alu instid0(VALU_DEP_2) | instskip(NEXT) | instid1(VALU_DEP_2)
	v_add_co_u32 v9, vcc_lo, v10, v9
	v_add_co_ci_u32_e32 v9, vcc_lo, v11, v13, vcc_lo
	v_add_co_ci_u32_e32 v10, vcc_lo, 0, v14, vcc_lo
	s_delay_alu instid0(VALU_DEP_2) | instskip(NEXT) | instid1(VALU_DEP_2)
	v_add_co_u32 v8, vcc_lo, v9, v8
	v_add_co_ci_u32_e32 v9, vcc_lo, 0, v10, vcc_lo
	s_delay_alu instid0(VALU_DEP_2) | instskip(NEXT) | instid1(VALU_DEP_2)
	v_add_co_u32 v2, vcc_lo, v2, v8
	v_add_co_ci_u32_e32 v7, vcc_lo, v7, v9, vcc_lo
	s_delay_alu instid0(VALU_DEP_2) | instskip(SKIP_1) | instid1(VALU_DEP_3)
	v_mul_hi_u32 v8, s2, v2
	v_mul_lo_u32 v10, s20, v2
	v_mul_lo_u32 v9, s2, v7
	s_delay_alu instid0(VALU_DEP_1) | instskip(SKIP_1) | instid1(VALU_DEP_2)
	v_add_nc_u32_e32 v8, v8, v9
	v_mul_lo_u32 v9, s2, v2
	v_add_nc_u32_e32 v8, v8, v10
	s_delay_alu instid0(VALU_DEP_2) | instskip(NEXT) | instid1(VALU_DEP_2)
	v_mul_hi_u32 v10, v2, v9
	v_mul_lo_u32 v11, v2, v8
	v_mul_hi_u32 v12, v2, v8
	v_mul_hi_u32 v13, v7, v9
	v_mul_lo_u32 v9, v7, v9
	v_mul_hi_u32 v14, v7, v8
	v_mul_lo_u32 v8, v7, v8
	v_add_co_u32 v10, vcc_lo, v10, v11
	v_add_co_ci_u32_e32 v11, vcc_lo, 0, v12, vcc_lo
	s_delay_alu instid0(VALU_DEP_2) | instskip(NEXT) | instid1(VALU_DEP_2)
	v_add_co_u32 v9, vcc_lo, v10, v9
	v_add_co_ci_u32_e32 v9, vcc_lo, v11, v13, vcc_lo
	v_add_co_ci_u32_e32 v10, vcc_lo, 0, v14, vcc_lo
	s_delay_alu instid0(VALU_DEP_2) | instskip(NEXT) | instid1(VALU_DEP_2)
	v_add_co_u32 v8, vcc_lo, v9, v8
	v_add_co_ci_u32_e32 v9, vcc_lo, 0, v10, vcc_lo
	s_delay_alu instid0(VALU_DEP_2) | instskip(NEXT) | instid1(VALU_DEP_2)
	v_add_co_u32 v2, vcc_lo, v2, v8
	v_add_co_ci_u32_e32 v13, vcc_lo, v7, v9, vcc_lo
	s_delay_alu instid0(VALU_DEP_2) | instskip(SKIP_1) | instid1(VALU_DEP_3)
	v_mul_hi_u32 v14, v5, v2
	v_mad_u64_u32 v[9:10], null, v6, v2, 0
	v_mad_u64_u32 v[7:8], null, v5, v13, 0
	;; [unrolled: 1-line block ×3, first 2 shown]
	s_delay_alu instid0(VALU_DEP_2) | instskip(NEXT) | instid1(VALU_DEP_3)
	v_add_co_u32 v2, vcc_lo, v14, v7
	v_add_co_ci_u32_e32 v7, vcc_lo, 0, v8, vcc_lo
	s_delay_alu instid0(VALU_DEP_2) | instskip(NEXT) | instid1(VALU_DEP_2)
	v_add_co_u32 v2, vcc_lo, v2, v9
	v_add_co_ci_u32_e32 v2, vcc_lo, v7, v10, vcc_lo
	v_add_co_ci_u32_e32 v7, vcc_lo, 0, v12, vcc_lo
	s_delay_alu instid0(VALU_DEP_2) | instskip(NEXT) | instid1(VALU_DEP_2)
	v_add_co_u32 v2, vcc_lo, v2, v11
	v_add_co_ci_u32_e32 v9, vcc_lo, 0, v7, vcc_lo
	s_delay_alu instid0(VALU_DEP_2) | instskip(SKIP_1) | instid1(VALU_DEP_3)
	v_mul_lo_u32 v10, s19, v2
	v_mad_u64_u32 v[7:8], null, s18, v2, 0
	v_mul_lo_u32 v11, s18, v9
	s_delay_alu instid0(VALU_DEP_2) | instskip(NEXT) | instid1(VALU_DEP_2)
	v_sub_co_u32 v7, vcc_lo, v5, v7
	v_add3_u32 v8, v8, v11, v10
	s_delay_alu instid0(VALU_DEP_1) | instskip(NEXT) | instid1(VALU_DEP_1)
	v_sub_nc_u32_e32 v10, v6, v8
	v_subrev_co_ci_u32_e64 v10, s2, s19, v10, vcc_lo
	v_add_co_u32 v11, s2, v2, 2
	s_delay_alu instid0(VALU_DEP_1) | instskip(SKIP_3) | instid1(VALU_DEP_3)
	v_add_co_ci_u32_e64 v12, s2, 0, v9, s2
	v_sub_co_u32 v13, s2, v7, s18
	v_sub_co_ci_u32_e32 v8, vcc_lo, v6, v8, vcc_lo
	v_subrev_co_ci_u32_e64 v10, s2, 0, v10, s2
	v_cmp_le_u32_e32 vcc_lo, s18, v13
	s_delay_alu instid0(VALU_DEP_3) | instskip(SKIP_1) | instid1(VALU_DEP_4)
	v_cmp_eq_u32_e64 s2, s19, v8
	v_cndmask_b32_e64 v13, 0, -1, vcc_lo
	v_cmp_le_u32_e32 vcc_lo, s19, v10
	v_cndmask_b32_e64 v14, 0, -1, vcc_lo
	v_cmp_le_u32_e32 vcc_lo, s18, v7
	;; [unrolled: 2-line block ×3, first 2 shown]
	v_cndmask_b32_e64 v15, 0, -1, vcc_lo
	v_cmp_eq_u32_e32 vcc_lo, s19, v10
	s_delay_alu instid0(VALU_DEP_2) | instskip(SKIP_3) | instid1(VALU_DEP_3)
	v_cndmask_b32_e64 v7, v15, v7, s2
	v_cndmask_b32_e32 v10, v14, v13, vcc_lo
	v_add_co_u32 v13, vcc_lo, v2, 1
	v_add_co_ci_u32_e32 v14, vcc_lo, 0, v9, vcc_lo
	v_cmp_ne_u32_e32 vcc_lo, 0, v10
	s_delay_alu instid0(VALU_DEP_2) | instskip(NEXT) | instid1(VALU_DEP_4)
	v_cndmask_b32_e32 v8, v14, v12, vcc_lo
	v_cndmask_b32_e32 v10, v13, v11, vcc_lo
	v_cmp_ne_u32_e32 vcc_lo, 0, v7
	s_delay_alu instid0(VALU_DEP_2)
	v_dual_cndmask_b32 v7, v2, v10 :: v_dual_cndmask_b32 v8, v9, v8
.LBB0_4:                                ;   in Loop: Header=BB0_2 Depth=1
	s_and_not1_saveexec_b32 s2, s3
	s_cbranch_execz .LBB0_6
; %bb.5:                                ;   in Loop: Header=BB0_2 Depth=1
	v_cvt_f32_u32_e32 v2, s18
	s_sub_i32 s3, 0, s18
	s_delay_alu instid0(VALU_DEP_1) | instskip(SKIP_2) | instid1(VALU_DEP_1)
	v_rcp_iflag_f32_e32 v2, v2
	s_waitcnt_depctr 0xfff
	v_mul_f32_e32 v2, 0x4f7ffffe, v2
	v_cvt_u32_f32_e32 v2, v2
	s_delay_alu instid0(VALU_DEP_1) | instskip(NEXT) | instid1(VALU_DEP_1)
	v_mul_lo_u32 v7, s3, v2
	v_mul_hi_u32 v7, v2, v7
	s_delay_alu instid0(VALU_DEP_1) | instskip(NEXT) | instid1(VALU_DEP_1)
	v_add_nc_u32_e32 v2, v2, v7
	v_mul_hi_u32 v2, v5, v2
	s_delay_alu instid0(VALU_DEP_1) | instskip(SKIP_1) | instid1(VALU_DEP_2)
	v_mul_lo_u32 v7, v2, s18
	v_add_nc_u32_e32 v8, 1, v2
	v_sub_nc_u32_e32 v7, v5, v7
	s_delay_alu instid0(VALU_DEP_1) | instskip(SKIP_1) | instid1(VALU_DEP_2)
	v_subrev_nc_u32_e32 v9, s18, v7
	v_cmp_le_u32_e32 vcc_lo, s18, v7
	v_dual_cndmask_b32 v7, v7, v9 :: v_dual_cndmask_b32 v2, v2, v8
	s_delay_alu instid0(VALU_DEP_1) | instskip(NEXT) | instid1(VALU_DEP_2)
	v_cmp_le_u32_e32 vcc_lo, s18, v7
	v_add_nc_u32_e32 v8, 1, v2
	s_delay_alu instid0(VALU_DEP_1)
	v_dual_cndmask_b32 v7, v2, v8 :: v_dual_mov_b32 v8, v1
.LBB0_6:                                ;   in Loop: Header=BB0_2 Depth=1
	s_or_b32 exec_lo, exec_lo, s2
	s_load_b64 s[2:3], s[12:13], 0x0
	s_delay_alu instid0(VALU_DEP_1) | instskip(NEXT) | instid1(VALU_DEP_2)
	v_mul_lo_u32 v2, v8, s18
	v_mul_lo_u32 v11, v7, s19
	v_mad_u64_u32 v[9:10], null, v7, s18, 0
	s_add_u32 s16, s16, 1
	s_addc_u32 s17, s17, 0
	s_add_u32 s12, s12, 8
	s_addc_u32 s13, s13, 0
	;; [unrolled: 2-line block ×3, first 2 shown]
	s_delay_alu instid0(VALU_DEP_1) | instskip(SKIP_1) | instid1(VALU_DEP_2)
	v_add3_u32 v2, v10, v11, v2
	v_sub_co_u32 v9, vcc_lo, v5, v9
	v_sub_co_ci_u32_e32 v2, vcc_lo, v6, v2, vcc_lo
	s_waitcnt lgkmcnt(0)
	s_delay_alu instid0(VALU_DEP_2) | instskip(NEXT) | instid1(VALU_DEP_2)
	v_mul_lo_u32 v10, s3, v9
	v_mul_lo_u32 v2, s2, v2
	v_mad_u64_u32 v[5:6], null, s2, v9, v[3:4]
	v_cmp_ge_u64_e64 s2, s[16:17], s[6:7]
	s_delay_alu instid0(VALU_DEP_1) | instskip(NEXT) | instid1(VALU_DEP_2)
	s_and_b32 vcc_lo, exec_lo, s2
	v_add3_u32 v4, v10, v6, v2
	s_delay_alu instid0(VALU_DEP_3)
	v_mov_b32_e32 v3, v5
	s_cbranch_vccnz .LBB0_9
; %bb.7:                                ;   in Loop: Header=BB0_2 Depth=1
	v_dual_mov_b32 v5, v7 :: v_dual_mov_b32 v6, v8
	s_branch .LBB0_2
.LBB0_8:
	v_dual_mov_b32 v8, v6 :: v_dual_mov_b32 v7, v5
.LBB0_9:
	s_lshl_b64 s[2:3], s[6:7], 3
	s_delay_alu instid0(SALU_CYCLE_1)
	s_add_u32 s2, s10, s2
	s_addc_u32 s3, s11, s3
	s_load_b64 s[2:3], s[2:3], 0x0
	s_load_b64 s[0:1], s[0:1], 0x20
	s_waitcnt lgkmcnt(0)
	v_mul_lo_u32 v5, s2, v8
	v_mul_lo_u32 v6, s3, v7
	v_mad_u64_u32 v[1:2], null, s2, v7, v[3:4]
	v_mul_hi_u32 v3, 0x183c978, v0
	v_cmp_gt_u64_e32 vcc_lo, s[0:1], v[7:8]
	s_delay_alu instid0(VALU_DEP_3) | instskip(NEXT) | instid1(VALU_DEP_3)
	v_add3_u32 v2, v6, v2, v5
	v_mul_u32_u24_e32 v3, 0xa9, v3
	s_delay_alu instid0(VALU_DEP_2) | instskip(NEXT) | instid1(VALU_DEP_2)
	v_lshlrev_b64 v[66:67], 4, v[1:2]
	v_sub_nc_u32_e32 v64, v0, v3
	s_and_saveexec_b32 s1, vcc_lo
	s_cbranch_execz .LBB0_13
; %bb.10:
	v_mov_b32_e32 v65, 0
	s_delay_alu instid0(VALU_DEP_3) | instskip(NEXT) | instid1(VALU_DEP_1)
	v_add_co_u32 v0, s0, s8, v66
	v_add_co_ci_u32_e64 v1, s0, s9, v67, s0
	s_delay_alu instid0(VALU_DEP_3) | instskip(SKIP_2) | instid1(VALU_DEP_2)
	v_lshlrev_b64 v[2:3], 4, v[64:65]
	v_lshl_add_u32 v42, v64, 4, 0
	s_mov_b32 s2, exec_lo
	v_add_co_u32 v18, s0, v0, v2
	s_delay_alu instid0(VALU_DEP_1) | instskip(SKIP_4) | instid1(VALU_DEP_1)
	v_add_co_ci_u32_e64 v19, s0, v1, v3, s0
	s_clause 0x1
	global_load_b128 v[2:5], v[18:19], off
	global_load_b128 v[6:9], v[18:19], off offset:2704
	v_add_co_u32 v14, s0, 0x1000, v18
	v_add_co_ci_u32_e64 v15, s0, 0, v19, s0
	v_add_co_u32 v20, s0, 0x2000, v18
	s_delay_alu instid0(VALU_DEP_1) | instskip(SKIP_1) | instid1(VALU_DEP_1)
	v_add_co_ci_u32_e64 v21, s0, 0, v19, s0
	v_add_co_u32 v26, s0, 0x3000, v18
	v_add_co_ci_u32_e64 v27, s0, 0, v19, s0
	v_add_co_u32 v30, s0, 0x4000, v18
	s_delay_alu instid0(VALU_DEP_1) | instskip(SKIP_1) | instid1(VALU_DEP_1)
	v_add_co_ci_u32_e64 v31, s0, 0, v19, s0
	v_add_co_u32 v38, s0, 0x5000, v18
	v_add_co_ci_u32_e64 v39, s0, 0, v19, s0
	s_clause 0x7
	global_load_b128 v[10:13], v[14:15], off offset:1312
	global_load_b128 v[14:17], v[14:15], off offset:4016
	;; [unrolled: 1-line block ×8, first 2 shown]
	s_waitcnt vmcnt(9)
	ds_store_b128 v42, v[2:5]
	s_waitcnt vmcnt(8)
	ds_store_b128 v42, v[6:9] offset:2704
	s_waitcnt vmcnt(7)
	ds_store_b128 v42, v[10:13] offset:5408
	;; [unrolled: 2-line block ×9, first 2 shown]
	v_cmpx_eq_u32_e32 0xa8, v64
	s_cbranch_execz .LBB0_12
; %bb.11:
	v_add_co_u32 v0, s0, 0x6000, v0
	s_delay_alu instid0(VALU_DEP_1)
	v_add_co_ci_u32_e64 v1, s0, 0, v1, s0
	v_mov_b32_e32 v64, 0xa8
	global_load_b128 v[0:3], v[0:1], off offset:2464
	s_waitcnt vmcnt(0)
	ds_store_b128 v65, v[0:3] offset:27040
.LBB0_12:
	s_or_b32 exec_lo, exec_lo, s2
.LBB0_13:
	s_delay_alu instid0(SALU_CYCLE_1) | instskip(NEXT) | instid1(VALU_DEP_1)
	s_or_b32 exec_lo, exec_lo, s1
	v_lshlrev_b32_e32 v0, 4, v64
	s_waitcnt lgkmcnt(0)
	s_barrier
	buffer_gl0_inv
	s_add_u32 s1, s4, 0x68d0
	v_add_nc_u32_e32 v188, 0, v0
	v_sub_nc_u32_e32 v10, 0, v0
	s_addc_u32 s2, s5, 0
	s_mov_b32 s3, exec_lo
                                        ; implicit-def: $vgpr4_vgpr5
	ds_load_b64 v[6:7], v188
	ds_load_b64 v[8:9], v10 offset:27040
	s_waitcnt lgkmcnt(0)
	v_add_f64 v[0:1], v[6:7], v[8:9]
	v_add_f64 v[2:3], v[6:7], -v[8:9]
	v_cmpx_ne_u32_e32 0, v64
	s_xor_b32 s3, exec_lo, s3
	s_cbranch_execz .LBB0_15
; %bb.14:
	v_mov_b32_e32 v65, 0
	v_add_f64 v[13:14], v[6:7], v[8:9]
	v_add_f64 v[15:16], v[6:7], -v[8:9]
	s_delay_alu instid0(VALU_DEP_3) | instskip(NEXT) | instid1(VALU_DEP_1)
	v_lshlrev_b64 v[0:1], 4, v[64:65]
	v_add_co_u32 v0, s0, s1, v0
	s_delay_alu instid0(VALU_DEP_1)
	v_add_co_ci_u32_e64 v1, s0, s2, v1, s0
	global_load_b128 v[2:5], v[0:1], off
	ds_load_b64 v[0:1], v10 offset:27048
	ds_load_b64 v[11:12], v188 offset:8
	s_waitcnt lgkmcnt(0)
	v_add_f64 v[6:7], v[0:1], v[11:12]
	v_add_f64 v[0:1], v[11:12], -v[0:1]
	s_waitcnt vmcnt(0)
	v_fma_f64 v[8:9], v[15:16], v[4:5], v[13:14]
	v_fma_f64 v[11:12], -v[15:16], v[4:5], v[13:14]
	s_delay_alu instid0(VALU_DEP_3) | instskip(SKIP_1) | instid1(VALU_DEP_4)
	v_fma_f64 v[13:14], v[6:7], v[4:5], -v[0:1]
	v_fma_f64 v[4:5], v[6:7], v[4:5], v[0:1]
	v_fma_f64 v[0:1], -v[6:7], v[2:3], v[8:9]
	s_delay_alu instid0(VALU_DEP_4) | instskip(NEXT) | instid1(VALU_DEP_4)
	v_fma_f64 v[6:7], v[6:7], v[2:3], v[11:12]
	v_fma_f64 v[8:9], v[15:16], v[2:3], v[13:14]
	s_delay_alu instid0(VALU_DEP_4)
	v_fma_f64 v[2:3], v[15:16], v[2:3], v[4:5]
	v_dual_mov_b32 v4, v64 :: v_dual_mov_b32 v5, v65
	ds_store_b128 v10, v[6:9] offset:27040
.LBB0_15:
	s_and_not1_saveexec_b32 s0, s3
	s_cbranch_execz .LBB0_17
; %bb.16:
	v_mov_b32_e32 v8, 0
	ds_load_b128 v[4:7], v8 offset:13520
	s_waitcnt lgkmcnt(0)
	v_add_f64 v[11:12], v[4:5], v[4:5]
	v_mul_f64 v[13:14], v[6:7], -2.0
	v_mov_b32_e32 v4, 0
	v_mov_b32_e32 v5, 0
	ds_store_b128 v8, v[11:14] offset:13520
.LBB0_17:
	s_or_b32 exec_lo, exec_lo, s0
	v_lshlrev_b64 v[4:5], 4, v[4:5]
	ds_store_b128 v188, v[0:3]
	s_mov_b32 s10, 0x4267c47c
	s_mov_b32 s6, 0x66966769
	;; [unrolled: 1-line block ×4, first 2 shown]
	v_add_co_u32 v23, s0, s1, v4
	s_delay_alu instid0(VALU_DEP_1) | instskip(SKIP_1) | instid1(VALU_DEP_2)
	v_add_co_ci_u32_e64 v24, s0, s2, v5, s0
	s_mov_b32 s2, 0x42a4c3d2
	v_add_co_u32 v8, s0, 0x1000, v23
	global_load_b128 v[4:7], v[23:24], off offset:2704
	v_add_co_ci_u32_e64 v9, s0, 0, v24, s0
	s_mov_b32 s3, 0xbfea55e2
	s_mov_b32 s22, 0xe00740e9
	;; [unrolled: 1-line block ×3, first 2 shown]
	global_load_b128 v[11:14], v[8:9], off offset:1312
	ds_load_b128 v[0:3], v188 offset:2704
	ds_load_b128 v[15:18], v10 offset:24336
	global_load_b128 v[19:22], v[8:9], off offset:4016
	s_mov_b32 s16, 0xebaa3ed8
	s_mov_b32 s14, 0x2ef20147
	;; [unrolled: 1-line block ×18, first 2 shown]
	s_waitcnt lgkmcnt(0)
	v_add_f64 v[8:9], v[0:1], v[15:16]
	v_add_f64 v[25:26], v[17:18], v[2:3]
	v_add_f64 v[15:16], v[0:1], -v[15:16]
	v_add_f64 v[0:1], v[2:3], -v[17:18]
	s_mov_b32 s34, 0xd0032e0c
	s_mov_b32 s35, 0xbfe7f3cc
	;; [unrolled: 1-line block ×6, first 2 shown]
	s_waitcnt vmcnt(2)
	s_delay_alu instid0(VALU_DEP_2) | instskip(NEXT) | instid1(VALU_DEP_2)
	v_fma_f64 v[2:3], v[15:16], v[6:7], v[8:9]
	v_fma_f64 v[17:18], v[25:26], v[6:7], v[0:1]
	v_fma_f64 v[8:9], -v[15:16], v[6:7], v[8:9]
	v_fma_f64 v[27:28], v[25:26], v[6:7], -v[0:1]
	s_delay_alu instid0(VALU_DEP_4) | instskip(NEXT) | instid1(VALU_DEP_4)
	v_fma_f64 v[0:1], -v[25:26], v[4:5], v[2:3]
	v_fma_f64 v[2:3], v[15:16], v[4:5], v[17:18]
	s_delay_alu instid0(VALU_DEP_4) | instskip(NEXT) | instid1(VALU_DEP_4)
	v_fma_f64 v[6:7], v[25:26], v[4:5], v[8:9]
	v_fma_f64 v[8:9], v[15:16], v[4:5], v[27:28]
	ds_store_b128 v188, v[0:3] offset:2704
	ds_store_b128 v10, v[6:9] offset:24336
	ds_load_b128 v[0:3], v188 offset:5408
	ds_load_b128 v[4:7], v10 offset:21632
	v_add_co_u32 v8, s0, 0x2000, v23
	s_delay_alu instid0(VALU_DEP_1)
	v_add_co_ci_u32_e64 v9, s0, 0, v24, s0
	v_cmp_gt_u32_e64 s0, 0x82, v64
	global_load_b128 v[15:18], v[8:9], off offset:2624
	s_waitcnt lgkmcnt(0)
	v_add_f64 v[8:9], v[0:1], v[4:5]
	v_add_f64 v[23:24], v[6:7], v[2:3]
	v_add_f64 v[25:26], v[0:1], -v[4:5]
	v_add_f64 v[0:1], v[2:3], -v[6:7]
	s_waitcnt vmcnt(2)
	s_delay_alu instid0(VALU_DEP_2) | instskip(NEXT) | instid1(VALU_DEP_2)
	v_fma_f64 v[2:3], v[25:26], v[13:14], v[8:9]
	v_fma_f64 v[4:5], v[23:24], v[13:14], v[0:1]
	v_fma_f64 v[6:7], -v[25:26], v[13:14], v[8:9]
	v_fma_f64 v[8:9], v[23:24], v[13:14], -v[0:1]
	s_delay_alu instid0(VALU_DEP_4) | instskip(NEXT) | instid1(VALU_DEP_4)
	v_fma_f64 v[0:1], -v[23:24], v[11:12], v[2:3]
	v_fma_f64 v[2:3], v[25:26], v[11:12], v[4:5]
	s_delay_alu instid0(VALU_DEP_4) | instskip(NEXT) | instid1(VALU_DEP_4)
	v_fma_f64 v[4:5], v[23:24], v[11:12], v[6:7]
	v_fma_f64 v[6:7], v[25:26], v[11:12], v[8:9]
	ds_store_b128 v188, v[0:3] offset:5408
	ds_store_b128 v10, v[4:7] offset:21632
	ds_load_b128 v[0:3], v188 offset:8112
	ds_load_b128 v[4:7], v10 offset:18928
	s_waitcnt lgkmcnt(0)
	v_add_f64 v[8:9], v[0:1], v[4:5]
	v_add_f64 v[11:12], v[6:7], v[2:3]
	v_add_f64 v[13:14], v[0:1], -v[4:5]
	v_add_f64 v[0:1], v[2:3], -v[6:7]
	s_waitcnt vmcnt(1)
	s_delay_alu instid0(VALU_DEP_2) | instskip(NEXT) | instid1(VALU_DEP_2)
	v_fma_f64 v[2:3], v[13:14], v[21:22], v[8:9]
	v_fma_f64 v[4:5], v[11:12], v[21:22], v[0:1]
	v_fma_f64 v[6:7], -v[13:14], v[21:22], v[8:9]
	v_fma_f64 v[8:9], v[11:12], v[21:22], -v[0:1]
	s_delay_alu instid0(VALU_DEP_4) | instskip(NEXT) | instid1(VALU_DEP_4)
	v_fma_f64 v[0:1], -v[11:12], v[19:20], v[2:3]
	v_fma_f64 v[2:3], v[13:14], v[19:20], v[4:5]
	s_delay_alu instid0(VALU_DEP_4) | instskip(NEXT) | instid1(VALU_DEP_4)
	v_fma_f64 v[4:5], v[11:12], v[19:20], v[6:7]
	v_fma_f64 v[6:7], v[13:14], v[19:20], v[8:9]
	ds_store_b128 v188, v[0:3] offset:8112
	ds_store_b128 v10, v[4:7] offset:18928
	ds_load_b128 v[0:3], v188 offset:10816
	ds_load_b128 v[4:7], v10 offset:16224
	s_waitcnt lgkmcnt(0)
	v_add_f64 v[8:9], v[0:1], v[4:5]
	v_add_f64 v[11:12], v[6:7], v[2:3]
	v_add_f64 v[13:14], v[0:1], -v[4:5]
	v_add_f64 v[0:1], v[2:3], -v[6:7]
	s_waitcnt vmcnt(0)
	s_delay_alu instid0(VALU_DEP_2) | instskip(NEXT) | instid1(VALU_DEP_2)
	v_fma_f64 v[2:3], v[13:14], v[17:18], v[8:9]
	v_fma_f64 v[4:5], v[11:12], v[17:18], v[0:1]
	v_fma_f64 v[6:7], -v[13:14], v[17:18], v[8:9]
	v_fma_f64 v[8:9], v[11:12], v[17:18], -v[0:1]
	s_delay_alu instid0(VALU_DEP_4) | instskip(NEXT) | instid1(VALU_DEP_4)
	v_fma_f64 v[0:1], -v[11:12], v[15:16], v[2:3]
	v_fma_f64 v[2:3], v[13:14], v[15:16], v[4:5]
	s_delay_alu instid0(VALU_DEP_4) | instskip(NEXT) | instid1(VALU_DEP_4)
	v_fma_f64 v[4:5], v[11:12], v[15:16], v[6:7]
	v_fma_f64 v[6:7], v[13:14], v[15:16], v[8:9]
	ds_store_b128 v188, v[0:3] offset:10816
	ds_store_b128 v10, v[4:7] offset:16224
	s_waitcnt lgkmcnt(0)
	s_barrier
	buffer_gl0_inv
	s_barrier
	buffer_gl0_inv
	ds_load_b128 v[12:15], v188 offset:24960
	ds_load_b128 v[32:35], v188 offset:2080
	ds_load_b128 v[24:27], v188
	ds_load_b128 v[16:19], v188 offset:22880
	ds_load_b128 v[40:43], v188 offset:4160
	;; [unrolled: 1-line block ×10, first 2 shown]
	s_waitcnt lgkmcnt(0)
	s_barrier
	buffer_gl0_inv
	v_add_f64 v[144:145], v[34:35], -v[14:15]
	v_add_f64 v[76:77], v[32:33], -v[12:13]
	;; [unrolled: 1-line block ×4, first 2 shown]
	v_add_f64 v[78:79], v[32:33], v[12:13]
	v_add_f64 v[148:149], v[34:35], v[14:15]
	v_add_f64 v[162:163], v[46:47], -v[22:23]
	v_add_f64 v[172:173], v[44:45], -v[20:21]
	v_add_f64 v[134:135], v[40:41], v[16:17]
	v_add_f64 v[168:169], v[42:43], v[18:19]
	;; [unrolled: 1-line block ×4, first 2 shown]
	v_add_f64 v[130:131], v[62:63], -v[30:31]
	v_add_f64 v[88:89], v[60:61], -v[28:29]
	v_add_f64 v[102:103], v[60:61], v[28:29]
	v_add_f64 v[184:185], v[62:63], v[30:31]
	v_add_f64 v[128:129], v[58:59], -v[38:39]
	v_add_f64 v[82:83], v[56:57], -v[36:37]
	v_add_f64 v[96:97], v[56:57], v[36:37]
	v_add_f64 v[156:157], v[58:59], v[38:39]
	v_add_f64 v[138:139], v[54:55], -v[50:51]
	v_mul_f64 v[72:73], v[144:145], s[10:11]
	v_mul_f64 v[74:75], v[76:77], s[10:11]
	;; [unrolled: 1-line block ×30, first 2 shown]
	v_fma_f64 v[0:1], v[78:79], s[22:23], v[72:73]
	v_fma_f64 v[2:3], v[148:149], s[22:23], -v[74:75]
	v_fma_f64 v[4:5], v[78:79], s[12:13], v[152:153]
	v_fma_f64 v[6:7], v[148:149], s[12:13], -v[154:155]
	;; [unrolled: 2-line block ×12, first 2 shown]
	v_fma_f64 v[207:208], v[156:157], s[16:17], -v[110:111]
	v_fma_f64 v[209:210], v[96:97], s[12:13], v[114:115]
	v_fma_f64 v[211:212], v[156:157], s[12:13], -v[122:123]
	v_add_f64 v[0:1], v[24:25], v[0:1]
	v_add_f64 v[2:3], v[26:27], v[2:3]
	;; [unrolled: 1-line block ×12, first 2 shown]
	v_add_f64 v[80:81], v[52:53], -v[48:49]
	v_add_f64 v[84:85], v[52:53], v[48:49]
	v_mul_f64 v[86:87], v[138:139], s[24:25]
	v_mul_f64 v[92:93], v[138:139], s[30:31]
	v_add_f64 v[0:1], v[98:99], v[0:1]
	v_add_f64 v[2:3], v[104:105], v[2:3]
	;; [unrolled: 1-line block ×7, first 2 shown]
	v_mul_f64 v[90:91], v[80:81], s[24:25]
	v_mul_f64 v[94:95], v[80:81], s[30:31]
	;; [unrolled: 1-line block ×4, first 2 shown]
	v_fma_f64 v[189:190], v[96:97], s[34:35], v[100:101]
	v_fma_f64 v[191:192], v[156:157], s[34:35], -v[106:107]
	v_fma_f64 v[193:194], v[96:97], s[16:17], v[108:109]
	v_add_f64 v[0:1], v[195:196], v[0:1]
	v_add_f64 v[2:3], v[197:198], v[2:3]
	;; [unrolled: 1-line block ×6, first 2 shown]
	v_fma_f64 v[195:196], v[84:85], s[26:27], v[86:87]
	v_fma_f64 v[197:198], v[150:151], s[26:27], -v[90:91]
	v_fma_f64 v[199:200], v[84:85], s[22:23], v[92:93]
	v_fma_f64 v[201:202], v[150:151], s[22:23], -v[94:95]
	v_fma_f64 v[203:204], v[84:85], s[34:35], v[98:99]
	v_fma_f64 v[205:206], v[150:151], s[34:35], -v[104:105]
	v_add_f64 v[0:1], v[189:190], v[0:1]
	v_add_f64 v[2:3], v[191:192], v[2:3]
	;; [unrolled: 1-line block ×12, first 2 shown]
	s_and_saveexec_b32 s1, s0
	s_cbranch_execz .LBB0_19
; %bb.18:
	v_add_f64 v[34:35], v[26:27], v[34:35]
	v_add_f64 v[32:33], v[24:25], v[32:33]
	v_mul_f64 v[189:190], v[78:79], s[16:17]
	v_mul_f64 v[191:192], v[148:149], s[22:23]
	;; [unrolled: 1-line block ×5, first 2 shown]
	s_mov_b32 s43, 0x3fcea1e5
	s_mov_b32 s42, s24
	v_mul_f64 v[199:200], v[186:187], s[34:35]
	v_mul_f64 v[205:206], v[186:187], s[12:13]
	;; [unrolled: 1-line block ×13, first 2 shown]
	s_mov_b32 s41, 0x3fea55e2
	s_mov_b32 s40, s2
	v_mul_f64 v[227:228], v[142:143], s[26:27]
	v_mul_f64 v[197:198], v[184:185], s[12:13]
	;; [unrolled: 1-line block ×5, first 2 shown]
	v_add_f64 v[34:35], v[34:35], v[42:43]
	v_add_f64 v[32:33], v[32:33], v[40:41]
	v_mul_f64 v[40:41], v[148:149], s[26:27]
	v_mul_f64 v[42:43], v[148:149], s[34:35]
	v_add_f64 v[176:177], v[189:190], -v[176:177]
	v_add_f64 v[152:153], v[193:194], -v[152:153]
	;; [unrolled: 1-line block ×3, first 2 shown]
	v_add_f64 v[74:75], v[74:75], v[191:192]
	v_add_f64 v[174:175], v[174:175], v[223:224]
	v_mul_f64 v[223:224], v[134:135], s[12:13]
	v_fma_f64 v[191:192], v[172:173], s[36:37], v[199:200]
	v_fma_f64 v[193:194], v[172:173], s[38:39], v[199:200]
	v_fma_f64 v[195:196], v[172:173], s[40:41], v[205:206]
	v_fma_f64 v[199:200], v[172:173], s[2:3], v[205:206]
	v_fma_f64 v[205:206], v[172:173], s[10:11], v[207:208]
	v_fma_f64 v[172:173], v[172:173], s[30:31], v[207:208]
	v_fma_f64 v[207:208], v[70:71], s[10:11], v[209:210]
	v_fma_f64 v[209:210], v[70:71], s[30:31], v[209:210]
	v_add_f64 v[170:171], v[170:171], v[219:220]
	v_mul_f64 v[219:220], v[162:163], s[38:39]
	v_add_f64 v[160:161], v[160:161], v[225:226]
	v_add_f64 v[146:147], v[229:230], -v[146:147]
	v_add_f64 v[158:159], v[158:159], v[186:187]
	v_add_f64 v[164:165], v[221:222], -v[164:165]
	v_mul_f64 v[221:222], v[142:143], s[16:17]
	v_add_f64 v[136:137], v[136:137], v[168:169]
	v_add_f64 v[182:183], v[182:183], v[217:218]
	v_mul_f64 v[217:218], v[102:103], s[34:35]
	v_mul_f64 v[225:226], v[130:131], s[6:7]
	v_add_f64 v[166:167], v[227:228], -v[166:167]
	v_mul_f64 v[227:228], v[102:103], s[18:19]
	v_add_f64 v[126:127], v[126:127], v[215:216]
	v_add_f64 v[34:35], v[34:35], v[46:47]
	;; [unrolled: 1-line block ×3, first 2 shown]
	v_mul_f64 v[44:45], v[148:149], s[18:19]
	v_mul_f64 v[46:47], v[144:145], s[24:25]
	v_fma_f64 v[231:232], v[76:77], s[42:43], v[40:41]
	v_fma_f64 v[40:41], v[76:77], s[24:25], v[40:41]
	;; [unrolled: 1-line block ×4, first 2 shown]
	v_add_f64 v[152:153], v[24:25], v[152:153]
	v_add_f64 v[176:177], v[24:25], v[176:177]
	v_add_f64 v[132:133], v[223:224], -v[132:133]
	v_mul_f64 v[223:224], v[156:157], s[26:27]
	v_fma_f64 v[168:169], v[142:143], s[34:35], v[219:220]
	v_fma_f64 v[219:220], v[142:143], s[34:35], -v[219:220]
	v_add_f64 v[140:141], v[221:222], -v[140:141]
	v_mul_f64 v[221:222], v[156:157], s[34:35]
	v_add_f64 v[118:119], v[217:218], -v[118:119]
	v_add_f64 v[112:113], v[227:228], -v[112:113]
	v_add_f64 v[34:35], v[34:35], v[62:63]
	v_add_f64 v[32:33], v[32:33], v[60:61]
	v_mul_f64 v[60:61], v[148:149], s[16:17]
	v_mul_f64 v[62:63], v[144:145], s[38:39]
	;; [unrolled: 1-line block ×4, first 2 shown]
	v_fma_f64 v[235:236], v[76:77], s[20:21], v[44:45]
	v_fma_f64 v[44:45], v[76:77], s[14:15], v[44:45]
	;; [unrolled: 1-line block ×3, first 2 shown]
	v_fma_f64 v[46:47], v[78:79], s[26:27], -v[46:47]
	v_add_f64 v[229:230], v[26:27], v[231:232]
	v_add_f64 v[40:41], v[26:27], v[40:41]
	;; [unrolled: 1-line block ×6, first 2 shown]
	v_mul_f64 v[152:153], v[150:151], s[18:19]
	v_mul_f64 v[176:177], v[150:151], s[16:17]
	v_add_f64 v[106:107], v[106:107], v[221:222]
	v_add_f64 v[34:35], v[34:35], v[58:59]
	;; [unrolled: 1-line block ×3, first 2 shown]
	v_mul_f64 v[58:59], v[142:143], s[18:19]
	v_add_f64 v[60:61], v[180:181], v[60:61]
	v_fma_f64 v[180:181], v[78:79], s[34:35], v[62:63]
	v_fma_f64 v[62:63], v[78:79], s[34:35], -v[62:63]
	v_fma_f64 v[189:190], v[78:79], s[18:19], v[144:145]
	v_fma_f64 v[78:79], v[78:79], s[18:19], -v[144:145]
	v_mul_f64 v[144:145], v[68:69], s[30:31]
	v_add_f64 v[148:149], v[154:155], v[148:149]
	v_mul_f64 v[154:155], v[68:69], s[28:29]
	v_mul_f64 v[68:69], v[68:69], s[36:37]
	v_add_f64 v[76:77], v[24:25], v[76:77]
	v_add_f64 v[46:47], v[24:25], v[46:47]
	v_add_f64 v[44:45], v[26:27], v[44:45]
	v_add_f64 v[235:236], v[26:27], v[235:236]
	v_mul_f64 v[56:57], v[102:103], s[22:23]
	v_add_f64 v[207:208], v[207:208], v[229:230]
	v_add_f64 v[40:41], v[209:210], v[40:41]
	v_mul_f64 v[209:210], v[128:129], s[14:15]
	v_add_f64 v[146:147], v[166:167], v[146:147]
	v_mul_f64 v[229:230], v[96:97], s[12:13]
	v_add_f64 v[34:35], v[34:35], v[54:55]
	v_add_f64 v[32:33], v[32:33], v[52:53]
	v_fma_f64 v[52:53], v[70:71], s[6:7], v[211:212]
	v_fma_f64 v[54:55], v[70:71], s[28:29], v[211:212]
	;; [unrolled: 1-line block ×4, first 2 shown]
	v_add_f64 v[58:59], v[58:59], -v[178:179]
	v_mul_f64 v[178:179], v[162:163], s[2:3]
	v_fma_f64 v[186:187], v[134:135], s[22:23], v[144:145]
	v_fma_f64 v[144:145], v[134:135], s[22:23], -v[144:145]
	v_fma_f64 v[231:232], v[134:135], s[16:17], v[154:155]
	v_fma_f64 v[154:155], v[134:135], s[16:17], -v[154:155]
	v_add_f64 v[180:181], v[24:25], v[180:181]
	v_add_f64 v[62:63], v[24:25], v[62:63]
	;; [unrolled: 1-line block ×4, first 2 shown]
	v_mul_f64 v[162:163], v[162:163], s[30:31]
	v_add_f64 v[189:190], v[24:25], v[189:190]
	v_add_f64 v[78:79], v[24:25], v[78:79]
	;; [unrolled: 1-line block ×3, first 2 shown]
	v_fma_f64 v[72:73], v[134:135], s[34:35], v[68:69]
	v_fma_f64 v[68:69], v[134:135], s[34:35], -v[68:69]
	v_add_f64 v[26:27], v[26:27], v[74:75]
	v_mul_f64 v[213:214], v[184:185], s[34:35]
	v_mul_f64 v[184:185], v[184:185], s[18:19]
	;; [unrolled: 1-line block ×3, first 2 shown]
	v_add_f64 v[56:57], v[56:57], -v[124:125]
	v_fma_f64 v[124:125], v[102:103], s[16:17], v[225:226]
	v_add_f64 v[40:41], v[193:194], v[40:41]
	v_mul_f64 v[74:75], v[96:97], s[34:35]
	v_add_f64 v[114:115], v[229:230], -v[114:115]
	v_add_f64 v[34:35], v[34:35], v[50:51]
	v_add_f64 v[32:33], v[32:33], v[48:49]
	v_add_f64 v[52:53], v[52:53], v[233:234]
	v_add_f64 v[42:43], v[54:55], v[42:43]
	v_add_f64 v[211:212], v[211:212], v[235:236]
	v_add_f64 v[44:45], v[70:71], v[44:45]
	v_mul_f64 v[233:234], v[96:97], s[16:17]
	v_fma_f64 v[48:49], v[142:143], s[12:13], v[178:179]
	v_add_f64 v[76:77], v[186:187], v[76:77]
	v_add_f64 v[46:47], v[144:145], v[46:47]
	v_fma_f64 v[50:51], v[142:143], s[12:13], -v[178:179]
	v_mul_f64 v[186:187], v[156:157], s[12:13]
	v_add_f64 v[180:181], v[231:232], v[180:181]
	v_add_f64 v[62:63], v[154:155], v[62:63]
	v_mul_f64 v[154:155], v[130:131], s[40:41]
	v_mul_f64 v[130:131], v[130:131], s[42:43]
	v_add_f64 v[60:61], v[170:171], v[60:61]
	v_add_f64 v[148:149], v[160:161], v[148:149]
	v_fma_f64 v[178:179], v[142:143], s[22:23], v[162:163]
	v_fma_f64 v[142:143], v[142:143], s[22:23], -v[162:163]
	v_add_f64 v[72:73], v[72:73], v[189:190]
	v_add_f64 v[68:69], v[68:69], v[78:79]
	;; [unrolled: 1-line block ×4, first 2 shown]
	v_mul_f64 v[162:163], v[156:157], s[18:19]
	v_mul_f64 v[144:145], v[128:129], s[30:31]
	;; [unrolled: 1-line block ×3, first 2 shown]
	v_fma_f64 v[132:133], v[88:89], s[24:25], v[201:202]
	v_fma_f64 v[136:137], v[88:89], s[42:43], v[201:202]
	v_add_f64 v[120:121], v[120:121], v[213:214]
	v_add_f64 v[116:117], v[116:117], v[184:185]
	v_fma_f64 v[184:185], v[102:103], s[16:17], -v[225:226]
	v_add_f64 v[58:59], v[58:59], v[164:165]
	v_mul_f64 v[128:129], v[128:129], s[42:43]
	v_mul_f64 v[235:236], v[84:85], s[22:23]
	;; [unrolled: 1-line block ×5, first 2 shown]
	v_add_f64 v[34:35], v[34:35], v[38:39]
	v_add_f64 v[32:33], v[32:33], v[36:37]
	v_fma_f64 v[36:37], v[88:89], s[2:3], v[197:198]
	v_fma_f64 v[38:39], v[88:89], s[40:41], v[197:198]
	;; [unrolled: 1-line block ×4, first 2 shown]
	v_add_f64 v[52:53], v[195:196], v[52:53]
	v_add_f64 v[42:43], v[199:200], v[42:43]
	;; [unrolled: 1-line block ×8, first 2 shown]
	v_fma_f64 v[201:202], v[102:103], s[12:13], v[154:155]
	v_fma_f64 v[154:155], v[102:103], s[12:13], -v[154:155]
	v_fma_f64 v[203:204], v[102:103], s[26:27], v[130:131]
	v_fma_f64 v[102:103], v[102:103], s[26:27], -v[130:131]
	v_add_f64 v[130:131], v[191:192], v[207:208]
	v_add_f64 v[60:61], v[182:183], v[60:61]
	;; [unrolled: 1-line block ×8, first 2 shown]
	v_fma_f64 v[140:141], v[82:83], s[10:11], v[134:135]
	v_fma_f64 v[134:135], v[82:83], s[30:31], v[134:135]
	;; [unrolled: 1-line block ×4, first 2 shown]
	v_add_f64 v[110:111], v[110:111], v[156:157]
	v_add_f64 v[108:109], v[233:234], -v[108:109]
	v_mul_f64 v[170:171], v[150:151], s[34:35]
	v_add_f64 v[56:57], v[56:57], v[58:59]
	v_mul_f64 v[54:55], v[150:151], s[26:27]
	v_mul_f64 v[78:79], v[138:139], s[14:15]
	;; [unrolled: 1-line block ×4, first 2 shown]
	v_add_f64 v[30:31], v[34:35], v[30:31]
	v_add_f64 v[28:29], v[32:33], v[28:29]
	v_fma_f64 v[32:33], v[82:83], s[20:21], v[162:163]
	v_fma_f64 v[34:35], v[82:83], s[14:15], v[162:163]
	v_fma_f64 v[162:163], v[96:97], s[18:19], -v[209:210]
	v_add_f64 v[38:39], v[38:39], v[40:41]
	v_fma_f64 v[142:143], v[82:83], s[24:25], v[223:224]
	v_add_f64 v[42:43], v[136:137], v[42:43]
	v_fma_f64 v[82:83], v[82:83], s[42:43], v[223:224]
	v_fma_f64 v[144:145], v[96:97], s[22:23], -v[144:145]
	v_add_f64 v[44:45], v[88:89], v[44:45]
	v_add_f64 v[88:89], v[118:119], v[146:147]
	v_add_f64 v[74:75], v[74:75], -v[100:101]
	v_fma_f64 v[100:101], v[96:97], s[26:27], v[128:129]
	v_add_f64 v[76:77], v[201:202], v[76:77]
	v_add_f64 v[40:41], v[154:155], v[46:47]
	v_add_f64 v[46:47], v[132:133], v[52:53]
	v_add_f64 v[48:49], v[203:204], v[48:49]
	v_add_f64 v[36:37], v[36:37], v[130:131]
	v_add_f64 v[52:53], v[126:127], v[60:61]
	v_add_f64 v[60:61], v[120:121], v[148:149]
	v_fma_f64 v[96:97], v[96:97], s[26:27], -v[128:129]
	v_add_f64 v[58:59], v[184:185], v[68:69]
	v_add_f64 v[50:51], v[102:103], v[50:51]
	;; [unrolled: 1-line block ×4, first 2 shown]
	v_mul_f64 v[231:232], v[84:85], s[26:27]
	v_add_f64 v[26:27], v[116:117], v[26:27]
	v_add_f64 v[24:25], v[112:113], v[24:25]
	v_fma_f64 v[112:113], v[80:81], s[20:21], v[152:153]
	v_fma_f64 v[118:119], v[80:81], s[14:15], v[152:153]
	v_add_f64 v[94:95], v[94:95], v[189:190]
	v_add_f64 v[92:93], v[235:236], -v[92:93]
	v_fma_f64 v[102:103], v[84:85], s[16:17], -v[160:161]
	v_add_f64 v[104:105], v[104:105], v[170:171]
	v_add_f64 v[70:71], v[70:71], -v[98:99]
	v_add_f64 v[56:57], v[114:115], v[56:57]
	v_fma_f64 v[72:73], v[80:81], s[28:29], v[176:177]
	v_add_f64 v[22:23], v[30:31], v[22:23]
	v_add_f64 v[20:21], v[28:29], v[20:21]
	v_fma_f64 v[30:31], v[84:85], s[16:17], v[160:161]
	v_fma_f64 v[28:29], v[80:81], s[6:7], v[176:177]
	;; [unrolled: 1-line block ×3, first 2 shown]
	v_add_f64 v[34:35], v[34:35], v[38:39]
	v_fma_f64 v[78:79], v[84:85], s[18:19], -v[78:79]
	v_add_f64 v[42:43], v[134:135], v[42:43]
	v_fma_f64 v[120:121], v[80:81], s[2:3], v[150:151]
	v_fma_f64 v[80:81], v[80:81], s[40:41], v[150:151]
	v_add_f64 v[54:55], v[90:91], v[54:55]
	v_fma_f64 v[90:91], v[84:85], s[12:13], v[138:139]
	v_fma_f64 v[84:85], v[84:85], s[12:13], -v[138:139]
	v_add_f64 v[44:45], v[82:83], v[44:45]
	v_add_f64 v[38:39], v[162:163], v[40:41]
	;; [unrolled: 1-line block ×13, first 2 shown]
	v_add_f64 v[86:87], v[231:232], -v[86:87]
	v_add_f64 v[76:77], v[106:107], v[26:27]
	v_add_f64 v[74:75], v[74:75], v[24:25]
	;; [unrolled: 1-line block ×22, first 2 shown]
	v_mad_u32_u24 v52, 0xc0, v64, v188
	v_add_f64 v[14:15], v[82:83], v[14:15]
	v_add_f64 v[12:13], v[88:89], v[12:13]
	ds_store_b128 v52, v[0:3] offset:160
	ds_store_b128 v52, v[4:7] offset:176
	ds_store_b128 v52, v[40:43] offset:32
	ds_store_b128 v52, v[36:39] offset:48
	ds_store_b128 v52, v[32:35] offset:64
	ds_store_b128 v52, v[28:31] offset:80
	ds_store_b128 v52, v[20:23] offset:96
	ds_store_b128 v52, v[16:19] offset:112
	ds_store_b128 v52, v[24:27] offset:128
	ds_store_b128 v52, v[44:47] offset:144
	ds_store_b128 v52, v[12:15]
	ds_store_b128 v52, v[48:51] offset:16
	ds_store_b128 v52, v[8:11] offset:192
.LBB0_19:
	s_or_b32 exec_lo, exec_lo, s1
	v_and_b32_e32 v12, 0xff, v64
	s_waitcnt lgkmcnt(0)
	s_barrier
	buffer_gl0_inv
	s_mov_b32 s6, 0x134454ff
	v_mul_lo_u16 v12, 0x4f, v12
	s_mov_b32 s7, 0x3fee6f0e
	s_mov_b32 s3, 0xbfee6f0e
	;; [unrolled: 1-line block ×4, first 2 shown]
	v_lshrrev_b16 v24, 10, v12
	s_mov_b32 s13, 0x3fe2cf23
	s_mov_b32 s11, 0xbfe2cf23
	;; [unrolled: 1-line block ×4, first 2 shown]
	v_mul_lo_u16 v12, v24, 13
	s_mov_b32 s15, 0x3fd3c6ef
	s_mov_b32 s16, 0x9b97f4a8
	;; [unrolled: 1-line block ×3, first 2 shown]
	v_and_b32_e32 v24, 0xffff, v24
	v_sub_nc_u16 v12, v64, v12
	s_delay_alu instid0(VALU_DEP_2) | instskip(NEXT) | instid1(VALU_DEP_2)
	v_mul_u32_u24_e32 v24, 0x820, v24
	v_and_b32_e32 v25, 0xff, v12
	s_delay_alu instid0(VALU_DEP_1) | instskip(SKIP_1) | instid1(VALU_DEP_2)
	v_mul_u32_u24_e32 v12, 9, v25
	v_lshlrev_b32_e32 v25, 4, v25
	v_lshlrev_b32_e32 v46, 4, v12
	s_delay_alu instid0(VALU_DEP_2)
	v_add3_u32 v24, 0, v24, v25
	s_clause 0x8
	global_load_b128 v[12:15], v46, s[4:5] offset:32
	global_load_b128 v[16:19], v46, s[4:5] offset:64
	;; [unrolled: 1-line block ×4, first 2 shown]
	global_load_b128 v[30:33], v46, s[4:5]
	global_load_b128 v[34:37], v46, s[4:5] offset:16
	global_load_b128 v[38:41], v46, s[4:5] offset:48
	;; [unrolled: 1-line block ×4, first 2 shown]
	ds_load_b128 v[50:53], v188 offset:8112
	ds_load_b128 v[54:57], v188 offset:13520
	;; [unrolled: 1-line block ×6, first 2 shown]
	s_waitcnt vmcnt(8) lgkmcnt(5)
	v_mul_f64 v[62:63], v[52:53], v[14:15]
	v_mul_f64 v[14:15], v[50:51], v[14:15]
	s_waitcnt vmcnt(7) lgkmcnt(4)
	v_mul_f64 v[80:81], v[56:57], v[18:19]
	v_mul_f64 v[18:19], v[54:55], v[18:19]
	s_waitcnt vmcnt(6) lgkmcnt(3)
	v_mul_f64 v[82:83], v[58:59], v[22:23]
	s_waitcnt vmcnt(5) lgkmcnt(2)
	v_mul_f64 v[84:85], v[68:69], v[28:29]
	v_mul_f64 v[28:29], v[70:71], v[28:29]
	;; [unrolled: 1-line block ×3, first 2 shown]
	s_waitcnt vmcnt(4) lgkmcnt(1)
	v_mul_f64 v[86:87], v[74:75], v[32:33]
	v_mul_f64 v[32:33], v[72:73], v[32:33]
	v_fma_f64 v[50:51], v[50:51], v[12:13], -v[62:63]
	v_fma_f64 v[52:53], v[52:53], v[12:13], v[14:15]
	v_fma_f64 v[54:55], v[54:55], v[16:17], -v[80:81]
	v_fma_f64 v[56:57], v[56:57], v[16:17], v[18:19]
	v_fma_f64 v[60:61], v[60:61], v[20:21], v[82:83]
	;; [unrolled: 1-line block ×3, first 2 shown]
	v_fma_f64 v[26:27], v[68:69], v[26:27], -v[28:29]
	v_fma_f64 v[28:29], v[58:59], v[20:21], -v[22:23]
	ds_load_b128 v[12:15], v188 offset:10816
	ds_load_b128 v[16:19], v188 offset:16224
	;; [unrolled: 1-line block ×3, first 2 shown]
	s_waitcnt vmcnt(3) lgkmcnt(3)
	v_mul_f64 v[58:59], v[78:79], v[36:37]
	v_mul_f64 v[36:37], v[76:77], v[36:37]
	v_fma_f64 v[72:73], v[72:73], v[30:31], -v[86:87]
	v_fma_f64 v[30:31], v[74:75], v[30:31], v[32:33]
	s_waitcnt vmcnt(2) lgkmcnt(2)
	v_mul_f64 v[68:69], v[14:15], v[40:41]
	v_mul_f64 v[40:41], v[12:13], v[40:41]
	s_waitcnt vmcnt(1) lgkmcnt(1)
	v_mul_f64 v[70:71], v[18:19], v[44:45]
	s_waitcnt vmcnt(0) lgkmcnt(0)
	v_mul_f64 v[80:81], v[22:23], v[48:49]
	v_mul_f64 v[44:45], v[16:17], v[44:45]
	;; [unrolled: 1-line block ×3, first 2 shown]
	v_add_f64 v[86:87], v[54:55], -v[50:51]
	v_add_f64 v[90:91], v[52:53], -v[56:57]
	v_add_f64 v[32:33], v[56:57], v[60:61]
	v_add_f64 v[74:75], v[52:53], v[62:63]
	v_add_f64 v[82:83], v[50:51], v[26:27]
	v_add_f64 v[84:85], v[54:55], v[28:29]
	v_add_f64 v[88:89], v[28:29], -v[26:27]
	v_fma_f64 v[58:59], v[76:77], v[34:35], -v[58:59]
	v_fma_f64 v[34:35], v[78:79], v[34:35], v[36:37]
	v_add_f64 v[92:93], v[62:63], -v[60:61]
	v_add_f64 v[94:95], v[56:57], -v[52:53]
	;; [unrolled: 1-line block ×3, first 2 shown]
	v_fma_f64 v[36:37], v[12:13], v[38:39], -v[68:69]
	v_fma_f64 v[38:39], v[14:15], v[38:39], v[40:41]
	v_fma_f64 v[16:17], v[16:17], v[42:43], -v[70:71]
	v_fma_f64 v[20:21], v[20:21], v[46:47], -v[80:81]
	v_fma_f64 v[18:19], v[18:19], v[42:43], v[44:45]
	v_fma_f64 v[22:23], v[22:23], v[46:47], v[48:49]
	v_add_f64 v[40:41], v[52:53], -v[62:63]
	v_add_f64 v[42:43], v[56:57], -v[60:61]
	;; [unrolled: 1-line block ×4, first 2 shown]
	ds_load_b128 v[12:15], v188
	s_waitcnt lgkmcnt(0)
	s_barrier
	buffer_gl0_inv
	v_fma_f64 v[32:33], v[32:33], -0.5, v[30:31]
	v_fma_f64 v[48:49], v[74:75], -0.5, v[30:31]
	;; [unrolled: 1-line block ×4, first 2 shown]
	v_add_f64 v[82:83], v[50:51], -v[54:55]
	v_add_f64 v[84:85], v[26:27], -v[28:29]
	v_add_f64 v[50:51], v[72:73], v[50:51]
	v_add_f64 v[30:31], v[30:31], v[52:53]
	v_add_f64 v[106:107], v[12:13], v[58:59]
	v_add_f64 v[112:113], v[14:15], v[34:35]
	v_add_f64 v[74:75], v[36:37], v[16:17]
	v_add_f64 v[76:77], v[58:59], v[20:21]
	v_add_f64 v[78:79], v[38:39], v[18:19]
	v_add_f64 v[80:81], v[34:35], v[22:23]
	v_add_f64 v[108:109], v[34:35], -v[22:23]
	v_add_f64 v[110:111], v[38:39], -v[18:19]
	;; [unrolled: 1-line block ×4, first 2 shown]
	v_fma_f64 v[98:99], v[44:45], s[2:3], v[32:33]
	v_fma_f64 v[100:101], v[46:47], s[6:7], v[48:49]
	;; [unrolled: 1-line block ×8, first 2 shown]
	v_add_f64 v[50:51], v[50:51], v[54:55]
	v_add_f64 v[30:31], v[30:31], v[56:57]
	v_fma_f64 v[52:53], v[74:75], -0.5, v[12:13]
	v_fma_f64 v[12:13], v[76:77], -0.5, v[12:13]
	;; [unrolled: 1-line block ×4, first 2 shown]
	v_add_f64 v[74:75], v[82:83], v[84:85]
	v_add_f64 v[76:77], v[86:87], v[88:89]
	;; [unrolled: 1-line block ×4, first 2 shown]
	v_add_f64 v[90:91], v[22:23], -v[18:19]
	v_add_f64 v[92:93], v[18:19], -v[22:23]
	v_fma_f64 v[82:83], v[46:47], s[10:11], v[98:99]
	v_fma_f64 v[84:85], v[44:45], s[10:11], v[100:101]
	;; [unrolled: 1-line block ×8, first 2 shown]
	v_add_f64 v[46:47], v[58:59], -v[36:37]
	v_add_f64 v[48:49], v[20:21], -v[16:17]
	;; [unrolled: 1-line block ×6, first 2 shown]
	v_add_f64 v[36:37], v[106:107], v[36:37]
	v_add_f64 v[38:39], v[112:113], v[38:39]
	;; [unrolled: 1-line block ×4, first 2 shown]
	v_fma_f64 v[54:55], v[108:109], s[6:7], v[52:53]
	v_fma_f64 v[52:53], v[108:109], s[2:3], v[52:53]
	;; [unrolled: 1-line block ×16, first 2 shown]
	v_add_f64 v[46:47], v[46:47], v[48:49]
	v_add_f64 v[48:49], v[58:59], v[68:69]
	;; [unrolled: 1-line block ×6, first 2 shown]
	v_fma_f64 v[36:37], v[110:111], s[12:13], v[54:55]
	v_fma_f64 v[38:39], v[110:111], s[10:11], v[52:53]
	;; [unrolled: 1-line block ×8, first 2 shown]
	v_mul_f64 v[60:61], v[82:83], s[12:13]
	v_mul_f64 v[68:69], v[84:85], s[6:7]
	;; [unrolled: 1-line block ×8, first 2 shown]
	v_add_f64 v[16:17], v[16:17], v[20:21]
	v_add_f64 v[18:19], v[18:19], v[22:23]
	;; [unrolled: 1-line block ×4, first 2 shown]
	v_fma_f64 v[26:27], v[46:47], s[14:15], v[36:37]
	v_fma_f64 v[30:31], v[46:47], s[14:15], v[38:39]
	;; [unrolled: 1-line block ×10, first 2 shown]
	v_fma_f64 v[52:53], v[44:45], s[6:7], -v[70:71]
	v_fma_f64 v[60:61], v[32:33], s[12:13], -v[72:73]
	v_fma_f64 v[68:69], v[82:83], s[16:17], v[74:75]
	v_fma_f64 v[70:71], v[84:85], s[14:15], v[76:77]
	v_fma_f64 v[72:73], v[86:87], s[2:3], -v[78:79]
	v_fma_f64 v[74:75], v[88:89], s[10:11], -v[80:81]
	v_add_f64 v[12:13], v[16:17], v[20:21]
	v_add_f64 v[14:15], v[18:19], v[22:23]
	v_add_f64 v[20:21], v[16:17], -v[20:21]
	v_add_f64 v[22:23], v[18:19], -v[22:23]
	v_add_f64 v[36:37], v[26:27], v[28:29]
	v_add_f64 v[40:41], v[62:63], v[34:35]
	;; [unrolled: 1-line block ×8, first 2 shown]
	v_add_f64 v[28:29], v[26:27], -v[28:29]
	v_add_f64 v[32:33], v[62:63], -v[34:35]
	v_add_f64 v[16:17], v[90:91], -v[52:53]
	v_add_f64 v[52:53], v[30:31], -v[60:61]
	v_add_f64 v[30:31], v[92:93], -v[68:69]
	v_add_f64 v[34:35], v[56:57], -v[70:71]
	v_add_f64 v[18:19], v[58:59], -v[72:73]
	v_add_f64 v[54:55], v[54:55], -v[74:75]
	ds_store_b128 v24, v[12:15]
	ds_store_b128 v24, v[36:39] offset:208
	ds_store_b128 v24, v[40:43] offset:416
	;; [unrolled: 1-line block ×9, first 2 shown]
	s_waitcnt lgkmcnt(0)
	s_barrier
	buffer_gl0_inv
	s_and_saveexec_b32 s1, s0
	s_cbranch_execz .LBB0_21
; %bb.20:
	ds_load_b128 v[12:15], v188
	ds_load_b128 v[36:39], v188 offset:2080
	ds_load_b128 v[40:43], v188 offset:4160
	;; [unrolled: 1-line block ×12, first 2 shown]
.LBB0_21:
	s_or_b32 exec_lo, exec_lo, s1
	s_waitcnt lgkmcnt(0)
	s_barrier
	buffer_gl0_inv
	s_and_saveexec_b32 s33, s0
	s_cbranch_execz .LBB0_23
; %bb.22:
	v_dual_mov_b32 v25, 0 :: v_dual_add_nc_u32 v24, 0xffffff7e, v64
	s_mov_b32 s12, 0x93053d00
	s_mov_b32 s13, 0xbfef11f4
	;; [unrolled: 1-line block ×3, first 2 shown]
	s_delay_alu instid0(VALU_DEP_1)
	v_cndmask_b32_e64 v24, v24, v64, s0
	s_mov_b32 s22, 0x2ef20147
	s_mov_b32 s16, 0x1ea71119
	s_mov_b32 s18, 0x42a4c3d2
	s_mov_b32 s2, 0xd0032e0c
	v_mul_i32_i24_e32 v24, 12, v24
	s_mov_b32 s6, 0x24c2f84
	s_mov_b32 s10, 0xe00740e9
	;; [unrolled: 1-line block ×4, first 2 shown]
	v_lshlrev_b64 v[24:25], 4, v[24:25]
	s_mov_b32 s21, 0xbfd6b1d8
	s_mov_b32 s23, 0x3fedeba7
	;; [unrolled: 1-line block ×5, first 2 shown]
	v_add_co_u32 v24, s0, s4, v24
	s_delay_alu instid0(VALU_DEP_1)
	v_add_co_ci_u32_e64 v25, s0, s5, v25, s0
	s_mov_b32 s0, 0xebaa3ed8
	s_mov_b32 s4, 0x66966769
	;; [unrolled: 1-line block ×3, first 2 shown]
	s_clause 0xb
	global_load_b128 v[60:63], v[24:25], off offset:1920
	global_load_b128 v[68:71], v[24:25], off offset:2000
	global_load_b128 v[74:77], v[24:25], off offset:1904
	global_load_b128 v[78:81], v[24:25], off offset:2016
	global_load_b128 v[82:85], v[24:25], off offset:1888
	global_load_b128 v[86:89], v[24:25], off offset:2032
	global_load_b128 v[90:93], v[24:25], off offset:1872
	global_load_b128 v[94:97], v[24:25], off offset:2048
	global_load_b128 v[98:101], v[24:25], off offset:1952
	global_load_b128 v[102:105], v[24:25], off offset:1968
	global_load_b128 v[106:109], v[24:25], off offset:1936
	global_load_b128 v[24:27], v[24:25], off offset:1984
	s_mov_b32 s5, 0xbfefc445
	s_mov_b32 s7, 0x3fe5384d
	;; [unrolled: 1-line block ×17, first 2 shown]
	s_waitcnt vmcnt(11)
	v_mul_f64 v[56:57], v[48:49], v[62:63]
	s_waitcnt vmcnt(10)
	v_mul_f64 v[58:59], v[52:53], v[70:71]
	;; [unrolled: 2-line block ×5, first 2 shown]
	v_mul_f64 v[76:77], v[46:47], v[76:77]
	s_waitcnt vmcnt(5)
	v_mul_f64 v[116:117], v[36:37], v[92:93]
	s_waitcnt vmcnt(4)
	v_mul_f64 v[118:119], v[8:9], v[96:97]
	v_mul_f64 v[80:81], v[2:3], v[80:81]
	;; [unrolled: 1-line block ×9, first 2 shown]
	s_waitcnt vmcnt(3)
	v_mul_f64 v[120:121], v[28:29], v[100:101]
	s_waitcnt vmcnt(2)
	v_mul_f64 v[122:123], v[32:33], v[104:105]
	v_mul_f64 v[100:101], v[30:31], v[100:101]
	v_mul_f64 v[104:105], v[34:35], v[104:105]
	v_fma_f64 v[56:57], v[50:51], v[60:61], v[56:57]
	v_fma_f64 v[50:51], v[54:55], v[68:69], v[58:59]
	;; [unrolled: 1-line block ×5, first 2 shown]
	s_waitcnt vmcnt(1)
	v_mul_f64 v[110:111], v[20:21], v[108:109]
	v_fma_f64 v[72:73], v[38:39], v[90:91], v[116:117]
	v_fma_f64 v[2:3], v[10:11], v[94:95], v[118:119]
	s_waitcnt vmcnt(0)
	v_mul_f64 v[112:113], v[16:17], v[26:27]
	v_mul_f64 v[108:109], v[22:23], v[108:109]
	v_fma_f64 v[42:43], v[44:45], v[74:75], -v[76:77]
	v_fma_f64 v[10:11], v[0:1], v[78:79], -v[80:81]
	;; [unrolled: 1-line block ×4, first 2 shown]
	v_fma_f64 v[6:7], v[6:7], v[86:87], v[114:115]
	v_mul_f64 v[114:115], v[18:19], v[26:27]
	v_fma_f64 v[40:41], v[40:41], v[82:83], -v[84:85]
	v_fma_f64 v[4:5], v[4:5], v[86:87], -v[88:89]
	;; [unrolled: 1-line block ×4, first 2 shown]
	v_fma_f64 v[36:37], v[30:31], v[98:99], v[120:121]
	v_fma_f64 v[30:31], v[34:35], v[102:103], v[122:123]
	v_fma_f64 v[34:35], v[28:29], v[98:99], -v[100:101]
	v_fma_f64 v[28:29], v[32:33], v[102:103], -v[104:105]
	v_add_f64 v[48:49], v[56:57], v[50:51]
	v_add_f64 v[68:69], v[56:57], -v[50:51]
	v_add_f64 v[52:53], v[54:55], v[46:47]
	v_add_f64 v[44:45], v[54:55], -v[46:47]
	v_fma_f64 v[22:23], v[22:23], v[106:107], v[110:111]
	v_add_f64 v[62:63], v[72:73], v[2:3]
	v_fma_f64 v[8:9], v[18:19], v[24:25], v[112:113]
	v_fma_f64 v[18:19], v[20:21], v[106:107], -v[108:109]
	v_add_f64 v[20:21], v[14:15], v[72:73]
	v_add_f64 v[70:71], v[72:73], -v[2:3]
	v_add_f64 v[32:33], v[42:43], -v[10:11]
	;; [unrolled: 1-line block ×3, first 2 shown]
	v_add_f64 v[82:83], v[74:75], v[0:1]
	v_add_f64 v[74:75], v[12:13], v[74:75]
	v_add_f64 v[60:61], v[58:59], v[6:7]
	v_add_f64 v[72:73], v[40:41], -v[4:5]
	v_add_f64 v[86:87], v[40:41], v[4:5]
	v_fma_f64 v[16:17], v[16:17], v[24:25], -v[114:115]
	v_add_f64 v[24:25], v[38:39], -v[26:27]
	v_add_f64 v[78:79], v[38:39], v[26:27]
	v_add_f64 v[84:85], v[58:59], -v[6:7]
	v_add_f64 v[80:81], v[42:43], v[10:11]
	v_add_f64 v[88:89], v[36:37], v[30:31]
	v_mul_f64 v[118:119], v[48:49], s[0:1]
	v_mul_f64 v[90:91], v[48:49], s[16:17]
	v_mul_f64 v[120:121], v[52:53], s[10:11]
	v_mul_f64 v[92:93], v[52:53], s[2:3]
	v_mul_f64 v[98:99], v[68:69], s[36:37]
	v_mul_f64 v[100:101], v[44:45], s[30:31]
	v_mul_f64 v[96:97], v[62:63], s[12:13]
	v_mul_f64 v[110:111], v[62:63], s[2:3]
	v_mul_f64 v[124:125], v[62:63], s[20:21]
	v_add_f64 v[20:21], v[20:21], v[58:59]
	v_mul_f64 v[102:103], v[70:71], s[26:27]
	v_mul_f64 v[116:117], v[70:71], s[30:31]
	;; [unrolled: 1-line block ×4, first 2 shown]
	v_add_f64 v[40:41], v[74:75], v[40:41]
	v_mul_f64 v[122:123], v[60:61], s[2:3]
	v_mul_f64 v[142:143], v[70:71], s[4:5]
	;; [unrolled: 1-line block ×29, first 2 shown]
	v_fma_f64 v[172:173], v[76:77], s[24:25], v[96:97]
	v_mul_f64 v[156:157], v[84:85], s[28:29]
	v_mul_f64 v[158:159], v[84:85], s[34:35]
	v_add_f64 v[20:21], v[20:21], v[54:55]
	v_mul_f64 v[160:161], v[84:85], s[6:7]
	v_mul_f64 v[162:163], v[84:85], s[26:27]
	;; [unrolled: 1-line block ×4, first 2 shown]
	v_add_f64 v[40:41], v[40:41], v[42:43]
	v_fma_f64 v[176:177], v[82:83], s[12:13], v[102:103]
	v_fma_f64 v[96:97], v[76:77], s[26:27], v[96:97]
	v_fma_f64 v[102:103], v[82:83], s[12:13], -v[102:103]
	v_fma_f64 v[182:183], v[76:77], s[6:7], v[110:111]
	v_fma_f64 v[186:187], v[82:83], s[2:3], v[116:117]
	;; [unrolled: 1-line block ×3, first 2 shown]
	v_fma_f64 v[116:117], v[82:83], s[2:3], -v[116:117]
	v_fma_f64 v[189:190], v[24:25], s[34:35], v[118:119]
	v_fma_f64 v[191:192], v[32:33], s[14:15], v[120:121]
	;; [unrolled: 1-line block ×9, first 2 shown]
	v_fma_f64 v[124:125], v[82:83], s[20:21], -v[130:131]
	v_fma_f64 v[130:131], v[76:77], s[34:35], v[138:139]
	v_fma_f64 v[201:202], v[82:83], s[0:1], v[142:143]
	v_fma_f64 v[138:139], v[76:77], s[4:5], v[138:139]
	v_fma_f64 v[142:143], v[82:83], s[0:1], -v[142:143]
	v_fma_f64 v[203:204], v[76:77], s[36:37], v[150:151]
	v_fma_f64 v[205:206], v[82:83], s[16:17], v[154:155]
	v_fma_f64 v[150:151], v[76:77], s[18:19], v[150:151]
	;; [unrolled: 4-line block ×3, first 2 shown]
	v_fma_f64 v[70:71], v[82:83], s[10:11], -v[70:71]
	v_fma_f64 v[170:171], v[72:73], s[14:15], v[94:95]
	v_add_f64 v[172:173], v[14:15], v[172:173]
	v_fma_f64 v[166:167], v[24:25], s[18:19], v[90:91]
	v_add_f64 v[20:21], v[20:21], v[56:57]
	v_fma_f64 v[168:169], v[32:33], s[6:7], v[92:93]
	v_fma_f64 v[174:175], v[78:79], s[16:17], v[98:99]
	;; [unrolled: 1-line block ×4, first 2 shown]
	v_add_f64 v[38:39], v[40:41], v[38:39]
	v_fma_f64 v[94:95], v[72:73], s[28:29], v[94:95]
	v_fma_f64 v[98:99], v[78:79], s[16:17], -v[98:99]
	v_fma_f64 v[178:179], v[24:25], s[26:27], v[104:105]
	v_fma_f64 v[54:55], v[32:33], s[36:37], v[106:107]
	v_fma_f64 v[180:181], v[72:73], s[4:5], v[108:109]
	v_fma_f64 v[184:185], v[78:79], s[12:13], v[112:113]
	v_fma_f64 v[104:105], v[24:25], s[24:25], v[104:105]
	v_fma_f64 v[106:107], v[32:33], s[18:19], v[106:107]
	v_fma_f64 v[108:109], v[72:73], s[34:35], v[108:109]
	v_fma_f64 v[112:113], v[78:79], s[12:13], -v[112:113]
	v_fma_f64 v[197:198], v[78:79], s[0:1], v[126:127]
	v_fma_f64 v[76:77], v[78:79], s[0:1], -v[126:127]
	v_fma_f64 v[82:83], v[24:25], s[14:15], v[132:133]
	v_fma_f64 v[56:57], v[32:33], s[38:39], v[134:135]
	;; [unrolled: 1-line block ×7, first 2 shown]
	v_fma_f64 v[58:59], v[78:79], s[10:11], -v[58:59]
	v_fma_f64 v[213:214], v[24:25], s[30:31], v[144:145]
	v_fma_f64 v[215:216], v[32:33], s[24:25], v[146:147]
	;; [unrolled: 1-line block ×7, first 2 shown]
	v_fma_f64 v[152:153], v[78:79], s[2:3], -v[152:153]
	v_fma_f64 v[221:222], v[24:25], s[22:23], v[48:49]
	v_fma_f64 v[24:25], v[24:25], s[38:39], v[48:49]
	;; [unrolled: 1-line block ×4, first 2 shown]
	v_add_f64 v[20:21], v[20:21], v[22:23]
	v_fma_f64 v[48:49], v[72:73], s[36:37], v[60:61]
	v_fma_f64 v[52:53], v[72:73], s[18:19], v[60:61]
	;; [unrolled: 1-line block ×3, first 2 shown]
	v_fma_f64 v[68:69], v[78:79], s[20:21], -v[68:69]
	v_add_f64 v[38:39], v[38:39], v[18:19]
	v_fma_f64 v[72:73], v[80:81], s[2:3], v[100:101]
	v_fma_f64 v[78:79], v[80:81], s[2:3], -v[100:101]
	v_fma_f64 v[100:101], v[80:81], s[16:17], v[114:115]
	v_fma_f64 v[114:115], v[80:81], s[16:17], -v[114:115]
	;; [unrolled: 2-line block ×10, first 2 shown]
	v_add_f64 v[176:177], v[12:13], v[176:177]
	v_add_f64 v[96:97], v[14:15], v[96:97]
	;; [unrolled: 1-line block ×25, first 2 shown]
	v_fma_f64 v[62:63], v[86:87], s[20:21], v[164:165]
	v_fma_f64 v[70:71], v[86:87], s[20:21], -v[164:165]
	v_fma_f64 v[164:165], v[86:87], s[16:17], v[84:85]
	v_fma_f64 v[84:85], v[86:87], s[16:17], -v[84:85]
	v_add_f64 v[86:87], v[22:23], v[8:9]
	v_add_f64 v[36:37], v[36:37], -v[30:31]
	v_add_f64 v[22:23], v[22:23], -v[8:9]
	v_add_f64 v[170:171], v[170:171], v[172:173]
	v_add_f64 v[172:173], v[34:35], -v[28:29]
	v_add_f64 v[34:35], v[34:35], v[28:29]
	v_add_f64 v[80:81], v[80:81], v[176:177]
	v_add_f64 v[176:177], v[18:19], -v[16:17]
	v_add_f64 v[18:19], v[18:19], v[16:17]
	v_add_f64 v[94:95], v[94:95], v[96:97]
	;; [unrolled: 1-line block ×20, first 2 shown]
	v_mul_f64 v[96:97], v[88:89], s[0:1]
	v_add_f64 v[14:15], v[52:53], v[14:15]
	v_mul_f64 v[217:218], v[88:89], s[10:11]
	v_add_f64 v[62:63], v[62:63], v[205:206]
	v_add_f64 v[70:71], v[70:71], v[154:155]
	;; [unrolled: 1-line block ×4, first 2 shown]
	v_mul_f64 v[156:157], v[86:87], s[20:21]
	v_mul_f64 v[30:31], v[36:37], s[36:37]
	;; [unrolled: 1-line block ×9, first 2 shown]
	v_add_f64 v[72:73], v[72:73], v[80:81]
	v_mul_f64 v[162:163], v[22:23], s[18:19]
	v_mul_f64 v[160:161], v[86:87], s[12:13]
	v_add_f64 v[92:93], v[92:93], v[94:95]
	v_add_f64 v[54:55], v[54:55], v[180:181]
	;; [unrolled: 1-line block ×3, first 2 shown]
	v_mul_f64 v[22:23], v[22:23], s[30:31]
	v_add_f64 v[168:169], v[168:169], v[170:171]
	v_mul_f64 v[86:87], v[86:87], s[2:3]
	v_mul_f64 v[182:183], v[36:37], s[34:35]
	v_add_f64 v[78:79], v[78:79], v[102:103]
	v_add_f64 v[124:125], v[128:129], v[124:125]
	v_add_f64 v[8:9], v[20:21], v[8:9]
	v_mul_f64 v[195:196], v[36:37], s[38:39]
	v_mul_f64 v[138:139], v[36:37], s[30:31]
	;; [unrolled: 1-line block ×3, first 2 shown]
	v_add_f64 v[56:57], v[56:57], v[126:127]
	v_add_f64 v[16:17], v[28:29], v[16:17]
	;; [unrolled: 1-line block ×3, first 2 shown]
	v_mul_f64 v[36:37], v[36:37], s[26:27]
	v_add_f64 v[128:129], v[215:216], v[203:204]
	v_add_f64 v[40:41], v[40:41], v[48:49]
	v_mul_f64 v[130:131], v[88:89], s[2:3]
	v_add_f64 v[14:15], v[32:33], v[14:15]
	v_mul_f64 v[122:123], v[88:89], s[16:17]
	v_add_f64 v[62:63], v[227:228], v[62:63]
	v_add_f64 v[70:71], v[74:75], v[70:71]
	;; [unrolled: 1-line block ×4, first 2 shown]
	v_fma_f64 v[209:210], v[176:177], s[22:23], v[156:157]
	v_fma_f64 v[180:181], v[34:35], s[16:17], v[30:31]
	;; [unrolled: 1-line block ×3, first 2 shown]
	v_fma_f64 v[237:238], v[34:35], s[16:17], -v[30:31]
	v_fma_f64 v[30:31], v[18:19], s[12:13], -v[38:39]
	v_add_f64 v[38:39], v[106:107], v[108:109]
	v_add_f64 v[106:107], v[114:115], v[116:117]
	;; [unrolled: 1-line block ×7, first 2 shown]
	v_fma_f64 v[84:85], v[18:19], s[20:21], v[231:232]
	v_fma_f64 v[156:157], v[176:177], s[38:39], v[156:157]
	;; [unrolled: 1-line block ×3, first 2 shown]
	v_fma_f64 v[142:143], v[18:19], s[0:1], -v[154:155]
	v_add_f64 v[72:73], v[174:175], v[72:73]
	v_add_f64 v[90:91], v[90:91], v[92:93]
	;; [unrolled: 1-line block ×3, first 2 shown]
	v_fma_f64 v[20:21], v[176:177], s[14:15], v[158:159]
	v_fma_f64 v[80:81], v[18:19], s[10:11], v[233:234]
	v_add_f64 v[8:9], v[8:9], v[50:51]
	v_fma_f64 v[48:49], v[176:177], s[18:19], v[235:236]
	v_fma_f64 v[50:51], v[18:19], s[16:17], -v[162:163]
	v_add_f64 v[78:79], v[98:99], v[78:79]
	v_add_f64 v[54:55], v[178:179], v[54:55]
	;; [unrolled: 1-line block ×4, first 2 shown]
	v_fma_f64 v[102:103], v[176:177], s[26:27], v[160:161]
	v_fma_f64 v[160:161], v[176:177], s[24:25], v[160:161]
	v_mul_f64 v[110:111], v[88:89], s[20:21]
	v_fma_f64 v[158:159], v[176:177], s[28:29], v[158:159]
	v_fma_f64 v[233:234], v[18:19], s[10:11], -v[233:234]
	v_fma_f64 v[231:232], v[18:19], s[20:21], -v[231:232]
	v_fma_f64 v[44:45], v[18:19], s[16:17], v[162:163]
	v_add_f64 v[70:71], v[152:153], v[70:71]
	v_add_f64 v[58:59], v[58:59], v[74:75]
	;; [unrolled: 1-line block ×3, first 2 shown]
	v_fma_f64 v[136:137], v[18:19], s[0:1], v[154:155]
	v_fma_f64 v[148:149], v[18:19], s[2:3], v[22:23]
	v_fma_f64 v[18:19], v[18:19], s[2:3], -v[22:23]
	v_add_f64 v[22:23], v[166:167], v[168:169]
	v_fma_f64 v[32:33], v[176:177], s[36:37], v[235:236]
	v_add_f64 v[38:39], v[104:105], v[38:39]
	v_add_f64 v[98:99], v[112:113], v[106:107]
	;; [unrolled: 1-line block ×9, first 2 shown]
	v_fma_f64 v[134:135], v[176:177], s[4:5], v[205:206]
	v_add_f64 v[82:83], v[213:214], v[128:129]
	v_add_f64 v[62:63], v[219:220], v[62:63]
	v_mul_f64 v[88:89], v[88:89], s[12:13]
	v_fma_f64 v[146:147], v[176:177], s[6:7], v[86:87]
	v_fma_f64 v[86:87], v[176:177], s[30:31], v[86:87]
	v_add_f64 v[14:15], v[24:25], v[14:15]
	v_add_f64 v[12:13], v[68:69], v[12:13]
	v_add_f64 v[8:9], v[8:9], v[46:47]
	v_add_f64 v[40:41], v[221:222], v[40:41]
	v_fma_f64 v[207:208], v[172:173], s[4:5], v[96:97]
	v_fma_f64 v[52:53], v[34:35], s[0:1], v[182:183]
	v_add_f64 v[10:11], v[16:17], v[10:11]
	v_add_f64 v[16:17], v[60:61], v[26:27]
	v_fma_f64 v[96:97], v[172:173], s[34:35], v[96:97]
	v_fma_f64 v[182:183], v[34:35], s[0:1], -v[182:183]
	v_fma_f64 v[28:29], v[34:35], s[20:21], v[195:196]
	v_fma_f64 v[195:196], v[34:35], s[20:21], -v[195:196]
	;; [unrolled: 2-line block ×3, first 2 shown]
	v_fma_f64 v[114:115], v[34:35], s[10:11], v[150:151]
	v_fma_f64 v[116:117], v[172:173], s[28:29], v[217:218]
	v_fma_f64 v[118:119], v[34:35], s[10:11], -v[150:151]
	v_fma_f64 v[124:125], v[34:35], s[12:13], v[36:37]
	v_fma_f64 v[126:127], v[34:35], s[12:13], -v[36:37]
	v_add_f64 v[26:27], v[84:85], v[72:73]
	v_add_f64 v[34:35], v[156:157], v[90:91]
	;; [unrolled: 1-line block ×3, first 2 shown]
	v_fma_f64 v[24:25], v[172:173], s[30:31], v[130:131]
	v_add_f64 v[20:21], v[20:21], v[54:55]
	v_add_f64 v[54:55], v[80:81], v[92:93]
	;; [unrolled: 1-line block ×3, first 2 shown]
	v_fma_f64 v[94:95], v[172:173], s[18:19], v[122:123]
	v_add_f64 v[84:85], v[140:141], v[108:109]
	v_add_f64 v[48:49], v[48:49], v[106:107]
	v_fma_f64 v[122:123], v[172:173], s[36:37], v[122:123]
	v_add_f64 v[42:43], v[160:161], v[42:43]
	v_add_f64 v[58:59], v[30:31], v[74:75]
	v_fma_f64 v[170:171], v[172:173], s[22:23], v[110:111]
	v_fma_f64 v[110:111], v[172:173], s[38:39], v[110:111]
	v_add_f64 v[38:39], v[158:159], v[38:39]
	v_add_f64 v[72:73], v[233:234], v[98:99]
	;; [unrolled: 1-line block ×6, first 2 shown]
	v_fma_f64 v[46:47], v[172:173], s[6:7], v[130:131]
	v_add_f64 v[56:57], v[32:33], v[56:57]
	v_add_f64 v[44:45], v[44:45], v[76:77]
	v_fma_f64 v[112:113], v[172:173], s[14:15], v[217:218]
	v_add_f64 v[74:75], v[134:135], v[82:83]
	v_add_f64 v[62:63], v[136:137], v[62:63]
	v_fma_f64 v[120:121], v[172:173], s[24:25], v[88:89]
	v_fma_f64 v[88:89], v[172:173], s[26:27], v[88:89]
	v_add_f64 v[82:83], v[86:87], v[14:15]
	v_add_f64 v[86:87], v[18:19], v[12:13]
	;; [unrolled: 1-line block ×32, first 2 shown]
	ds_store_b128 v188, v[32:35] offset:4160
	ds_store_b128 v188, v[28:31] offset:6240
	;; [unrolled: 1-line block ×11, first 2 shown]
	ds_store_b128 v188, v[0:3]
	ds_store_b128 v188, v[44:47] offset:24960
.LBB0_23:
	s_or_b32 exec_lo, exec_lo, s33
	s_waitcnt lgkmcnt(0)
	s_barrier
	buffer_gl0_inv
	s_and_saveexec_b32 s0, vcc_lo
	s_cbranch_execz .LBB0_25
; %bb.24:
	v_dual_mov_b32 v65, 0 :: v_dual_add_nc_u32 v8, 0xa9, v64
	v_add_co_u32 v36, vcc_lo, s8, v66
	v_lshl_add_u32 v34, v64, 4, 0
	s_delay_alu instid0(VALU_DEP_3) | instskip(SKIP_3) | instid1(VALU_DEP_4)
	v_lshlrev_b64 v[0:1], 4, v[64:65]
	v_add_co_ci_u32_e32 v37, vcc_lo, s9, v67, vcc_lo
	v_dual_mov_b32 v9, v65 :: v_dual_add_nc_u32 v10, 0x152, v64
	v_dual_mov_b32 v11, v65 :: v_dual_add_nc_u32 v22, 0x1fb, v64
	v_add_co_u32 v16, vcc_lo, v36, v0
	s_delay_alu instid0(VALU_DEP_4)
	v_add_co_ci_u32_e32 v17, vcc_lo, v37, v1, vcc_lo
	ds_load_b128 v[0:3], v34
	ds_load_b128 v[4:7], v34 offset:2704
	v_lshlrev_b64 v[18:19], 4, v[8:9]
	v_lshlrev_b64 v[20:21], 4, v[10:11]
	ds_load_b128 v[8:11], v34 offset:5408
	ds_load_b128 v[12:15], v34 offset:8112
	v_dual_mov_b32 v23, v65 :: v_dual_add_nc_u32 v24, 0x2a4, v64
	v_mov_b32_e32 v25, v65
	v_add_co_u32 v18, vcc_lo, v36, v18
	s_delay_alu instid0(VALU_DEP_3) | instskip(SKIP_3) | instid1(VALU_DEP_4)
	v_lshlrev_b64 v[22:23], 4, v[22:23]
	v_add_co_ci_u32_e32 v19, vcc_lo, v37, v19, vcc_lo
	v_add_co_u32 v20, vcc_lo, v36, v20
	v_add_co_ci_u32_e32 v21, vcc_lo, v37, v21, vcc_lo
	v_add_co_u32 v22, vcc_lo, v36, v22
	s_waitcnt lgkmcnt(3)
	global_store_b128 v[16:17], v[0:3], off
	s_waitcnt lgkmcnt(2)
	global_store_b128 v[18:19], v[4:7], off
	v_dual_mov_b32 v3, v65 :: v_dual_add_nc_u32 v2, 0x34d, v64
	v_add_co_ci_u32_e32 v23, vcc_lo, v37, v23, vcc_lo
	v_lshlrev_b64 v[0:1], 4, v[24:25]
	s_waitcnt lgkmcnt(1)
	global_store_b128 v[20:21], v[8:11], off
	s_waitcnt lgkmcnt(0)
	global_store_b128 v[22:23], v[12:15], off
	v_add_nc_u32_e32 v10, 0x3f6, v64
	v_lshlrev_b64 v[8:9], 4, v[2:3]
	v_dual_mov_b32 v11, v65 :: v_dual_add_nc_u32 v16, 0x49f, v64
	v_add_co_u32 v24, vcc_lo, v36, v0
	v_add_co_ci_u32_e32 v25, vcc_lo, v37, v1, vcc_lo
	s_delay_alu instid0(VALU_DEP_4)
	v_add_co_u32 v26, vcc_lo, v36, v8
	v_add_co_ci_u32_e32 v27, vcc_lo, v37, v9, vcc_lo
	v_lshlrev_b64 v[8:9], 4, v[10:11]
	v_dual_mov_b32 v17, v65 :: v_dual_add_nc_u32 v18, 0x548, v64
	v_dual_mov_b32 v19, v65 :: v_dual_add_nc_u32 v64, 0x5f1, v64
	ds_load_b128 v[0:3], v34 offset:10816
	ds_load_b128 v[4:7], v34 offset:13520
	v_add_co_u32 v28, vcc_lo, v36, v8
	v_add_co_ci_u32_e32 v29, vcc_lo, v37, v9, vcc_lo
	ds_load_b128 v[8:11], v34 offset:16224
	ds_load_b128 v[12:15], v34 offset:18928
	v_lshlrev_b64 v[30:31], 4, v[16:17]
	v_lshlrev_b64 v[32:33], 4, v[18:19]
	ds_load_b128 v[16:19], v34 offset:21632
	ds_load_b128 v[20:23], v34 offset:24336
	v_lshlrev_b64 v[34:35], 4, v[64:65]
	v_add_co_u32 v30, vcc_lo, v36, v30
	v_add_co_ci_u32_e32 v31, vcc_lo, v37, v31, vcc_lo
	v_add_co_u32 v32, vcc_lo, v36, v32
	v_add_co_ci_u32_e32 v33, vcc_lo, v37, v33, vcc_lo
	;; [unrolled: 2-line block ×3, first 2 shown]
	s_waitcnt lgkmcnt(5)
	global_store_b128 v[24:25], v[0:3], off
	s_waitcnt lgkmcnt(4)
	global_store_b128 v[26:27], v[4:7], off
	;; [unrolled: 2-line block ×6, first 2 shown]
.LBB0_25:
	s_nop 0
	s_sendmsg sendmsg(MSG_DEALLOC_VGPRS)
	s_endpgm
	.section	.rodata,"a",@progbits
	.p2align	6, 0x0
	.amdhsa_kernel fft_rtc_fwd_len1690_factors_13_10_13_wgs_169_tpt_169_dp_ip_CI_unitstride_sbrr_C2R_dirReg
		.amdhsa_group_segment_fixed_size 0
		.amdhsa_private_segment_fixed_size 0
		.amdhsa_kernarg_size 88
		.amdhsa_user_sgpr_count 15
		.amdhsa_user_sgpr_dispatch_ptr 0
		.amdhsa_user_sgpr_queue_ptr 0
		.amdhsa_user_sgpr_kernarg_segment_ptr 1
		.amdhsa_user_sgpr_dispatch_id 0
		.amdhsa_user_sgpr_private_segment_size 0
		.amdhsa_wavefront_size32 1
		.amdhsa_uses_dynamic_stack 0
		.amdhsa_enable_private_segment 0
		.amdhsa_system_sgpr_workgroup_id_x 1
		.amdhsa_system_sgpr_workgroup_id_y 0
		.amdhsa_system_sgpr_workgroup_id_z 0
		.amdhsa_system_sgpr_workgroup_info 0
		.amdhsa_system_vgpr_workitem_id 0
		.amdhsa_next_free_vgpr 239
		.amdhsa_next_free_sgpr 44
		.amdhsa_reserve_vcc 1
		.amdhsa_float_round_mode_32 0
		.amdhsa_float_round_mode_16_64 0
		.amdhsa_float_denorm_mode_32 3
		.amdhsa_float_denorm_mode_16_64 3
		.amdhsa_dx10_clamp 1
		.amdhsa_ieee_mode 1
		.amdhsa_fp16_overflow 0
		.amdhsa_workgroup_processor_mode 1
		.amdhsa_memory_ordered 1
		.amdhsa_forward_progress 0
		.amdhsa_shared_vgpr_count 0
		.amdhsa_exception_fp_ieee_invalid_op 0
		.amdhsa_exception_fp_denorm_src 0
		.amdhsa_exception_fp_ieee_div_zero 0
		.amdhsa_exception_fp_ieee_overflow 0
		.amdhsa_exception_fp_ieee_underflow 0
		.amdhsa_exception_fp_ieee_inexact 0
		.amdhsa_exception_int_div_zero 0
	.end_amdhsa_kernel
	.text
.Lfunc_end0:
	.size	fft_rtc_fwd_len1690_factors_13_10_13_wgs_169_tpt_169_dp_ip_CI_unitstride_sbrr_C2R_dirReg, .Lfunc_end0-fft_rtc_fwd_len1690_factors_13_10_13_wgs_169_tpt_169_dp_ip_CI_unitstride_sbrr_C2R_dirReg
                                        ; -- End function
	.section	.AMDGPU.csdata,"",@progbits
; Kernel info:
; codeLenInByte = 13872
; NumSgprs: 46
; NumVgprs: 239
; ScratchSize: 0
; MemoryBound: 0
; FloatMode: 240
; IeeeMode: 1
; LDSByteSize: 0 bytes/workgroup (compile time only)
; SGPRBlocks: 5
; VGPRBlocks: 29
; NumSGPRsForWavesPerEU: 46
; NumVGPRsForWavesPerEU: 239
; Occupancy: 6
; WaveLimiterHint : 1
; COMPUTE_PGM_RSRC2:SCRATCH_EN: 0
; COMPUTE_PGM_RSRC2:USER_SGPR: 15
; COMPUTE_PGM_RSRC2:TRAP_HANDLER: 0
; COMPUTE_PGM_RSRC2:TGID_X_EN: 1
; COMPUTE_PGM_RSRC2:TGID_Y_EN: 0
; COMPUTE_PGM_RSRC2:TGID_Z_EN: 0
; COMPUTE_PGM_RSRC2:TIDIG_COMP_CNT: 0
	.text
	.p2alignl 7, 3214868480
	.fill 96, 4, 3214868480
	.type	__hip_cuid_36fff38486edca1a,@object ; @__hip_cuid_36fff38486edca1a
	.section	.bss,"aw",@nobits
	.globl	__hip_cuid_36fff38486edca1a
__hip_cuid_36fff38486edca1a:
	.byte	0                               ; 0x0
	.size	__hip_cuid_36fff38486edca1a, 1

	.ident	"AMD clang version 19.0.0git (https://github.com/RadeonOpenCompute/llvm-project roc-6.4.0 25133 c7fe45cf4b819c5991fe208aaa96edf142730f1d)"
	.section	".note.GNU-stack","",@progbits
	.addrsig
	.addrsig_sym __hip_cuid_36fff38486edca1a
	.amdgpu_metadata
---
amdhsa.kernels:
  - .args:
      - .actual_access:  read_only
        .address_space:  global
        .offset:         0
        .size:           8
        .value_kind:     global_buffer
      - .offset:         8
        .size:           8
        .value_kind:     by_value
      - .actual_access:  read_only
        .address_space:  global
        .offset:         16
        .size:           8
        .value_kind:     global_buffer
      - .actual_access:  read_only
        .address_space:  global
        .offset:         24
        .size:           8
        .value_kind:     global_buffer
      - .offset:         32
        .size:           8
        .value_kind:     by_value
      - .actual_access:  read_only
        .address_space:  global
        .offset:         40
        .size:           8
        .value_kind:     global_buffer
      - .actual_access:  read_only
        .address_space:  global
        .offset:         48
        .size:           8
        .value_kind:     global_buffer
      - .offset:         56
        .size:           4
        .value_kind:     by_value
      - .actual_access:  read_only
        .address_space:  global
        .offset:         64
        .size:           8
        .value_kind:     global_buffer
      - .actual_access:  read_only
        .address_space:  global
        .offset:         72
        .size:           8
        .value_kind:     global_buffer
      - .address_space:  global
        .offset:         80
        .size:           8
        .value_kind:     global_buffer
    .group_segment_fixed_size: 0
    .kernarg_segment_align: 8
    .kernarg_segment_size: 88
    .language:       OpenCL C
    .language_version:
      - 2
      - 0
    .max_flat_workgroup_size: 169
    .name:           fft_rtc_fwd_len1690_factors_13_10_13_wgs_169_tpt_169_dp_ip_CI_unitstride_sbrr_C2R_dirReg
    .private_segment_fixed_size: 0
    .sgpr_count:     46
    .sgpr_spill_count: 0
    .symbol:         fft_rtc_fwd_len1690_factors_13_10_13_wgs_169_tpt_169_dp_ip_CI_unitstride_sbrr_C2R_dirReg.kd
    .uniform_work_group_size: 1
    .uses_dynamic_stack: false
    .vgpr_count:     239
    .vgpr_spill_count: 0
    .wavefront_size: 32
    .workgroup_processor_mode: 1
amdhsa.target:   amdgcn-amd-amdhsa--gfx1100
amdhsa.version:
  - 1
  - 2
...

	.end_amdgpu_metadata
